;; amdgpu-corpus repo=ROCm/rocFFT kind=compiled arch=gfx1100 opt=O3
	.text
	.amdgcn_target "amdgcn-amd-amdhsa--gfx1100"
	.amdhsa_code_object_version 6
	.protected	fft_rtc_fwd_len2028_factors_13_4_3_13_wgs_156_tpt_156_dp_op_CI_CI_unitstride_sbrr_R2C_dirReg ; -- Begin function fft_rtc_fwd_len2028_factors_13_4_3_13_wgs_156_tpt_156_dp_op_CI_CI_unitstride_sbrr_R2C_dirReg
	.globl	fft_rtc_fwd_len2028_factors_13_4_3_13_wgs_156_tpt_156_dp_op_CI_CI_unitstride_sbrr_R2C_dirReg
	.p2align	8
	.type	fft_rtc_fwd_len2028_factors_13_4_3_13_wgs_156_tpt_156_dp_op_CI_CI_unitstride_sbrr_R2C_dirReg,@function
fft_rtc_fwd_len2028_factors_13_4_3_13_wgs_156_tpt_156_dp_op_CI_CI_unitstride_sbrr_R2C_dirReg: ; @fft_rtc_fwd_len2028_factors_13_4_3_13_wgs_156_tpt_156_dp_op_CI_CI_unitstride_sbrr_R2C_dirReg
; %bb.0:
	s_clause 0x2
	s_load_b128 s[8:11], s[0:1], 0x0
	s_load_b128 s[4:7], s[0:1], 0x58
	;; [unrolled: 1-line block ×3, first 2 shown]
	v_mul_u32_u24_e32 v1, 0x1a5, v0
	v_mov_b32_e32 v3, 0
	s_delay_alu instid0(VALU_DEP_2) | instskip(NEXT) | instid1(VALU_DEP_1)
	v_lshrrev_b32_e32 v1, 16, v1
	v_add_nc_u32_e32 v5, s15, v1
	v_mov_b32_e32 v1, 0
	v_mov_b32_e32 v2, 0
	;; [unrolled: 1-line block ×3, first 2 shown]
	s_waitcnt lgkmcnt(0)
	v_cmp_lt_u64_e64 s2, s[10:11], 2
	s_delay_alu instid0(VALU_DEP_1)
	s_and_b32 vcc_lo, exec_lo, s2
	s_cbranch_vccnz .LBB0_8
; %bb.1:
	s_load_b64 s[2:3], s[0:1], 0x10
	v_mov_b32_e32 v1, 0
	v_mov_b32_e32 v2, 0
	s_add_u32 s12, s18, 8
	s_addc_u32 s13, s19, 0
	s_add_u32 s14, s16, 8
	s_addc_u32 s15, s17, 0
	v_dual_mov_b32 v65, v2 :: v_dual_mov_b32 v64, v1
	s_mov_b64 s[22:23], 1
	s_waitcnt lgkmcnt(0)
	s_add_u32 s20, s2, 8
	s_addc_u32 s21, s3, 0
.LBB0_2:                                ; =>This Inner Loop Header: Depth=1
	s_load_b64 s[24:25], s[20:21], 0x0
                                        ; implicit-def: $vgpr68_vgpr69
	s_mov_b32 s2, exec_lo
	s_waitcnt lgkmcnt(0)
	v_or_b32_e32 v4, s25, v6
	s_delay_alu instid0(VALU_DEP_1)
	v_cmpx_ne_u64_e32 0, v[3:4]
	s_xor_b32 s3, exec_lo, s2
	s_cbranch_execz .LBB0_4
; %bb.3:                                ;   in Loop: Header=BB0_2 Depth=1
	v_cvt_f32_u32_e32 v4, s24
	v_cvt_f32_u32_e32 v7, s25
	s_sub_u32 s2, 0, s24
	s_subb_u32 s26, 0, s25
	s_delay_alu instid0(VALU_DEP_1) | instskip(NEXT) | instid1(VALU_DEP_1)
	v_fmac_f32_e32 v4, 0x4f800000, v7
	v_rcp_f32_e32 v4, v4
	s_waitcnt_depctr 0xfff
	v_mul_f32_e32 v4, 0x5f7ffffc, v4
	s_delay_alu instid0(VALU_DEP_1) | instskip(NEXT) | instid1(VALU_DEP_1)
	v_mul_f32_e32 v7, 0x2f800000, v4
	v_trunc_f32_e32 v7, v7
	s_delay_alu instid0(VALU_DEP_1) | instskip(SKIP_1) | instid1(VALU_DEP_2)
	v_fmac_f32_e32 v4, 0xcf800000, v7
	v_cvt_u32_f32_e32 v7, v7
	v_cvt_u32_f32_e32 v4, v4
	s_delay_alu instid0(VALU_DEP_2) | instskip(NEXT) | instid1(VALU_DEP_2)
	v_mul_lo_u32 v8, s2, v7
	v_mul_hi_u32 v9, s2, v4
	v_mul_lo_u32 v10, s26, v4
	s_delay_alu instid0(VALU_DEP_2) | instskip(SKIP_1) | instid1(VALU_DEP_2)
	v_add_nc_u32_e32 v8, v9, v8
	v_mul_lo_u32 v9, s2, v4
	v_add_nc_u32_e32 v8, v8, v10
	s_delay_alu instid0(VALU_DEP_2) | instskip(NEXT) | instid1(VALU_DEP_2)
	v_mul_hi_u32 v10, v4, v9
	v_mul_lo_u32 v11, v4, v8
	v_mul_hi_u32 v12, v4, v8
	v_mul_hi_u32 v13, v7, v9
	v_mul_lo_u32 v9, v7, v9
	v_mul_hi_u32 v14, v7, v8
	v_mul_lo_u32 v8, v7, v8
	v_add_co_u32 v10, vcc_lo, v10, v11
	v_add_co_ci_u32_e32 v11, vcc_lo, 0, v12, vcc_lo
	s_delay_alu instid0(VALU_DEP_2) | instskip(NEXT) | instid1(VALU_DEP_2)
	v_add_co_u32 v9, vcc_lo, v10, v9
	v_add_co_ci_u32_e32 v9, vcc_lo, v11, v13, vcc_lo
	v_add_co_ci_u32_e32 v10, vcc_lo, 0, v14, vcc_lo
	s_delay_alu instid0(VALU_DEP_2) | instskip(NEXT) | instid1(VALU_DEP_2)
	v_add_co_u32 v8, vcc_lo, v9, v8
	v_add_co_ci_u32_e32 v9, vcc_lo, 0, v10, vcc_lo
	s_delay_alu instid0(VALU_DEP_2) | instskip(NEXT) | instid1(VALU_DEP_2)
	v_add_co_u32 v4, vcc_lo, v4, v8
	v_add_co_ci_u32_e32 v7, vcc_lo, v7, v9, vcc_lo
	s_delay_alu instid0(VALU_DEP_2) | instskip(SKIP_1) | instid1(VALU_DEP_3)
	v_mul_hi_u32 v8, s2, v4
	v_mul_lo_u32 v10, s26, v4
	v_mul_lo_u32 v9, s2, v7
	s_delay_alu instid0(VALU_DEP_1) | instskip(SKIP_1) | instid1(VALU_DEP_2)
	v_add_nc_u32_e32 v8, v8, v9
	v_mul_lo_u32 v9, s2, v4
	v_add_nc_u32_e32 v8, v8, v10
	s_delay_alu instid0(VALU_DEP_2) | instskip(NEXT) | instid1(VALU_DEP_2)
	v_mul_hi_u32 v10, v4, v9
	v_mul_lo_u32 v11, v4, v8
	v_mul_hi_u32 v12, v4, v8
	v_mul_hi_u32 v13, v7, v9
	v_mul_lo_u32 v9, v7, v9
	v_mul_hi_u32 v14, v7, v8
	v_mul_lo_u32 v8, v7, v8
	v_add_co_u32 v10, vcc_lo, v10, v11
	v_add_co_ci_u32_e32 v11, vcc_lo, 0, v12, vcc_lo
	s_delay_alu instid0(VALU_DEP_2) | instskip(NEXT) | instid1(VALU_DEP_2)
	v_add_co_u32 v9, vcc_lo, v10, v9
	v_add_co_ci_u32_e32 v9, vcc_lo, v11, v13, vcc_lo
	v_add_co_ci_u32_e32 v10, vcc_lo, 0, v14, vcc_lo
	s_delay_alu instid0(VALU_DEP_2) | instskip(NEXT) | instid1(VALU_DEP_2)
	v_add_co_u32 v8, vcc_lo, v9, v8
	v_add_co_ci_u32_e32 v9, vcc_lo, 0, v10, vcc_lo
	s_delay_alu instid0(VALU_DEP_2) | instskip(NEXT) | instid1(VALU_DEP_2)
	v_add_co_u32 v4, vcc_lo, v4, v8
	v_add_co_ci_u32_e32 v13, vcc_lo, v7, v9, vcc_lo
	s_delay_alu instid0(VALU_DEP_2) | instskip(SKIP_1) | instid1(VALU_DEP_3)
	v_mul_hi_u32 v14, v5, v4
	v_mad_u64_u32 v[9:10], null, v6, v4, 0
	v_mad_u64_u32 v[7:8], null, v5, v13, 0
	;; [unrolled: 1-line block ×3, first 2 shown]
	s_delay_alu instid0(VALU_DEP_2) | instskip(NEXT) | instid1(VALU_DEP_3)
	v_add_co_u32 v4, vcc_lo, v14, v7
	v_add_co_ci_u32_e32 v7, vcc_lo, 0, v8, vcc_lo
	s_delay_alu instid0(VALU_DEP_2) | instskip(NEXT) | instid1(VALU_DEP_2)
	v_add_co_u32 v4, vcc_lo, v4, v9
	v_add_co_ci_u32_e32 v4, vcc_lo, v7, v10, vcc_lo
	v_add_co_ci_u32_e32 v7, vcc_lo, 0, v12, vcc_lo
	s_delay_alu instid0(VALU_DEP_2) | instskip(NEXT) | instid1(VALU_DEP_2)
	v_add_co_u32 v4, vcc_lo, v4, v11
	v_add_co_ci_u32_e32 v9, vcc_lo, 0, v7, vcc_lo
	s_delay_alu instid0(VALU_DEP_2) | instskip(SKIP_1) | instid1(VALU_DEP_3)
	v_mul_lo_u32 v10, s25, v4
	v_mad_u64_u32 v[7:8], null, s24, v4, 0
	v_mul_lo_u32 v11, s24, v9
	s_delay_alu instid0(VALU_DEP_2) | instskip(NEXT) | instid1(VALU_DEP_2)
	v_sub_co_u32 v7, vcc_lo, v5, v7
	v_add3_u32 v8, v8, v11, v10
	s_delay_alu instid0(VALU_DEP_1) | instskip(NEXT) | instid1(VALU_DEP_1)
	v_sub_nc_u32_e32 v10, v6, v8
	v_subrev_co_ci_u32_e64 v10, s2, s25, v10, vcc_lo
	v_add_co_u32 v11, s2, v4, 2
	s_delay_alu instid0(VALU_DEP_1) | instskip(SKIP_3) | instid1(VALU_DEP_3)
	v_add_co_ci_u32_e64 v12, s2, 0, v9, s2
	v_sub_co_u32 v13, s2, v7, s24
	v_sub_co_ci_u32_e32 v8, vcc_lo, v6, v8, vcc_lo
	v_subrev_co_ci_u32_e64 v10, s2, 0, v10, s2
	v_cmp_le_u32_e32 vcc_lo, s24, v13
	s_delay_alu instid0(VALU_DEP_3) | instskip(SKIP_1) | instid1(VALU_DEP_4)
	v_cmp_eq_u32_e64 s2, s25, v8
	v_cndmask_b32_e64 v13, 0, -1, vcc_lo
	v_cmp_le_u32_e32 vcc_lo, s25, v10
	v_cndmask_b32_e64 v14, 0, -1, vcc_lo
	v_cmp_le_u32_e32 vcc_lo, s24, v7
	;; [unrolled: 2-line block ×3, first 2 shown]
	v_cndmask_b32_e64 v15, 0, -1, vcc_lo
	v_cmp_eq_u32_e32 vcc_lo, s25, v10
	s_delay_alu instid0(VALU_DEP_2) | instskip(SKIP_3) | instid1(VALU_DEP_3)
	v_cndmask_b32_e64 v7, v15, v7, s2
	v_cndmask_b32_e32 v10, v14, v13, vcc_lo
	v_add_co_u32 v13, vcc_lo, v4, 1
	v_add_co_ci_u32_e32 v14, vcc_lo, 0, v9, vcc_lo
	v_cmp_ne_u32_e32 vcc_lo, 0, v10
	s_delay_alu instid0(VALU_DEP_2) | instskip(NEXT) | instid1(VALU_DEP_4)
	v_cndmask_b32_e32 v8, v14, v12, vcc_lo
	v_cndmask_b32_e32 v10, v13, v11, vcc_lo
	v_cmp_ne_u32_e32 vcc_lo, 0, v7
	s_delay_alu instid0(VALU_DEP_2)
	v_dual_cndmask_b32 v69, v9, v8 :: v_dual_cndmask_b32 v68, v4, v10
.LBB0_4:                                ;   in Loop: Header=BB0_2 Depth=1
	s_and_not1_saveexec_b32 s2, s3
	s_cbranch_execz .LBB0_6
; %bb.5:                                ;   in Loop: Header=BB0_2 Depth=1
	v_cvt_f32_u32_e32 v4, s24
	s_sub_i32 s3, 0, s24
	v_mov_b32_e32 v69, v3
	s_delay_alu instid0(VALU_DEP_2) | instskip(SKIP_2) | instid1(VALU_DEP_1)
	v_rcp_iflag_f32_e32 v4, v4
	s_waitcnt_depctr 0xfff
	v_mul_f32_e32 v4, 0x4f7ffffe, v4
	v_cvt_u32_f32_e32 v4, v4
	s_delay_alu instid0(VALU_DEP_1) | instskip(NEXT) | instid1(VALU_DEP_1)
	v_mul_lo_u32 v7, s3, v4
	v_mul_hi_u32 v7, v4, v7
	s_delay_alu instid0(VALU_DEP_1) | instskip(NEXT) | instid1(VALU_DEP_1)
	v_add_nc_u32_e32 v4, v4, v7
	v_mul_hi_u32 v4, v5, v4
	s_delay_alu instid0(VALU_DEP_1) | instskip(SKIP_1) | instid1(VALU_DEP_2)
	v_mul_lo_u32 v7, v4, s24
	v_add_nc_u32_e32 v8, 1, v4
	v_sub_nc_u32_e32 v7, v5, v7
	s_delay_alu instid0(VALU_DEP_1) | instskip(SKIP_1) | instid1(VALU_DEP_2)
	v_subrev_nc_u32_e32 v9, s24, v7
	v_cmp_le_u32_e32 vcc_lo, s24, v7
	v_dual_cndmask_b32 v7, v7, v9 :: v_dual_cndmask_b32 v4, v4, v8
	s_delay_alu instid0(VALU_DEP_1) | instskip(NEXT) | instid1(VALU_DEP_2)
	v_cmp_le_u32_e32 vcc_lo, s24, v7
	v_add_nc_u32_e32 v8, 1, v4
	s_delay_alu instid0(VALU_DEP_1)
	v_cndmask_b32_e32 v68, v4, v8, vcc_lo
.LBB0_6:                                ;   in Loop: Header=BB0_2 Depth=1
	s_or_b32 exec_lo, exec_lo, s2
	s_delay_alu instid0(VALU_DEP_1) | instskip(NEXT) | instid1(VALU_DEP_2)
	v_mul_lo_u32 v4, v69, s24
	v_mul_lo_u32 v9, v68, s25
	s_load_b64 s[2:3], s[14:15], 0x0
	v_mad_u64_u32 v[7:8], null, v68, s24, 0
	s_load_b64 s[24:25], s[12:13], 0x0
	s_add_u32 s22, s22, 1
	s_addc_u32 s23, s23, 0
	s_add_u32 s12, s12, 8
	s_addc_u32 s13, s13, 0
	s_add_u32 s14, s14, 8
	s_delay_alu instid0(VALU_DEP_1) | instskip(SKIP_3) | instid1(VALU_DEP_2)
	v_add3_u32 v4, v8, v9, v4
	v_sub_co_u32 v8, vcc_lo, v5, v7
	s_addc_u32 s15, s15, 0
	s_add_u32 s20, s20, 8
	v_sub_co_ci_u32_e32 v6, vcc_lo, v6, v4, vcc_lo
	s_addc_u32 s21, s21, 0
	s_waitcnt lgkmcnt(0)
	s_delay_alu instid0(VALU_DEP_1)
	v_mul_lo_u32 v9, s2, v6
	v_mul_lo_u32 v10, s3, v8
	v_mad_u64_u32 v[4:5], null, s2, v8, v[1:2]
	v_mul_lo_u32 v11, s24, v6
	v_mul_lo_u32 v12, s25, v8
	v_mad_u64_u32 v[6:7], null, s24, v8, v[64:65]
	v_cmp_ge_u64_e64 s2, s[22:23], s[10:11]
	v_add3_u32 v2, v10, v5, v9
	s_delay_alu instid0(VALU_DEP_3) | instskip(NEXT) | instid1(VALU_DEP_4)
	v_dual_mov_b32 v1, v4 :: v_dual_mov_b32 v64, v6
	v_add3_u32 v65, v12, v7, v11
	s_delay_alu instid0(VALU_DEP_4)
	s_and_b32 vcc_lo, exec_lo, s2
	s_cbranch_vccnz .LBB0_9
; %bb.7:                                ;   in Loop: Header=BB0_2 Depth=1
	v_dual_mov_b32 v5, v68 :: v_dual_mov_b32 v6, v69
	s_branch .LBB0_2
.LBB0_8:
	v_dual_mov_b32 v65, v2 :: v_dual_mov_b32 v64, v1
	v_dual_mov_b32 v69, v6 :: v_dual_mov_b32 v68, v5
.LBB0_9:
	s_load_b64 s[0:1], s[0:1], 0x28
	v_mul_hi_u32 v3, 0x1a41a42, v0
	s_lshl_b64 s[10:11], s[10:11], 3
                                        ; implicit-def: $vgpr66
                                        ; implicit-def: $vgpr70
                                        ; implicit-def: $vgpr73
                                        ; implicit-def: $vgpr4
	scratch_store_b64 off, v[4:5], off      ; 8-byte Folded Spill
	s_add_u32 s2, s18, s10
	s_addc_u32 s3, s19, s11
	s_waitcnt lgkmcnt(0)
	v_cmp_gt_u64_e32 vcc_lo, s[0:1], v[68:69]
	v_cmp_le_u64_e64 s0, s[0:1], v[68:69]
	s_delay_alu instid0(VALU_DEP_1) | instskip(NEXT) | instid1(SALU_CYCLE_1)
	s_and_saveexec_b32 s1, s0
	s_xor_b32 s0, exec_lo, s1
	s_cbranch_execz .LBB0_11
; %bb.10:
	v_mul_u32_u24_e32 v1, 0x9c, v3
                                        ; implicit-def: $vgpr3
	s_delay_alu instid0(VALU_DEP_1) | instskip(NEXT) | instid1(VALU_DEP_1)
	v_sub_nc_u32_e32 v66, v0, v1
	v_add_nc_u32_e32 v70, 0x9c, v66
	v_add_nc_u32_e32 v73, 0x138, v66
	;; [unrolled: 1-line block ×3, first 2 shown]
	scratch_store_b64 off, v[0:1], off      ; 8-byte Folded Spill
                                        ; implicit-def: $vgpr0
                                        ; implicit-def: $vgpr1_vgpr2
.LBB0_11:
	s_and_not1_saveexec_b32 s1, s0
	s_cbranch_execz .LBB0_13
; %bb.12:
	s_add_u32 s10, s16, s10
	s_addc_u32 s11, s17, s11
	v_lshlrev_b64 v[1:2], 4, v[1:2]
	s_load_b64 s[10:11], s[10:11], 0x0
	s_waitcnt lgkmcnt(0)
	v_mul_lo_u32 v6, s11, v68
	v_mul_lo_u32 v7, s10, v69
	v_mad_u64_u32 v[4:5], null, s10, v68, 0
	s_delay_alu instid0(VALU_DEP_1) | instskip(SKIP_1) | instid1(VALU_DEP_2)
	v_add3_u32 v5, v5, v7, v6
	v_mul_u32_u24_e32 v6, 0x9c, v3
	v_lshlrev_b64 v[3:4], 4, v[4:5]
	s_delay_alu instid0(VALU_DEP_2) | instskip(NEXT) | instid1(VALU_DEP_1)
	v_sub_nc_u32_e32 v66, v0, v6
	v_lshlrev_b32_e32 v52, 4, v66
	s_delay_alu instid0(VALU_DEP_3) | instskip(NEXT) | instid1(VALU_DEP_1)
	v_add_co_u32 v0, s0, s4, v3
	v_add_co_ci_u32_e64 v3, s0, s5, v4, s0
	v_add_nc_u32_e32 v70, 0x9c, v66
	s_delay_alu instid0(VALU_DEP_3) | instskip(NEXT) | instid1(VALU_DEP_1)
	v_add_co_u32 v0, s0, v0, v1
	v_add_co_ci_u32_e64 v1, s0, v3, v2, s0
	v_add_nc_u32_e32 v73, 0x138, v66
	s_delay_alu instid0(VALU_DEP_3) | instskip(NEXT) | instid1(VALU_DEP_1)
	v_add_co_u32 v8, s0, v0, v52
	v_add_co_ci_u32_e64 v9, s0, 0, v1, s0
	s_clause 0x1
	global_load_b128 v[0:3], v[8:9], off
	global_load_b128 v[4:7], v[8:9], off offset:2496
	v_add_co_u32 v12, s0, 0x1000, v8
	s_delay_alu instid0(VALU_DEP_1) | instskip(SKIP_1) | instid1(VALU_DEP_1)
	v_add_co_ci_u32_e64 v13, s0, 0, v9, s0
	v_add_co_u32 v16, s0, 0x2000, v8
	v_add_co_ci_u32_e64 v17, s0, 0, v9, s0
	v_add_co_u32 v24, s0, 0x3000, v8
	s_delay_alu instid0(VALU_DEP_1) | instskip(SKIP_1) | instid1(VALU_DEP_1)
	v_add_co_ci_u32_e64 v25, s0, 0, v9, s0
	v_add_co_u32 v32, s0, 0x4000, v8
	v_add_co_ci_u32_e64 v33, s0, 0, v9, s0
	;; [unrolled: 5-line block ×3, first 2 shown]
	v_add_co_u32 v48, s0, 0x7000, v8
	s_delay_alu instid0(VALU_DEP_1)
	v_add_co_ci_u32_e64 v49, s0, 0, v9, s0
	s_clause 0xa
	global_load_b128 v[8:11], v[12:13], off offset:896
	global_load_b128 v[12:15], v[12:13], off offset:3392
	;; [unrolled: 1-line block ×11, first 2 shown]
	v_add_nc_u32_e32 v52, 0, v52
	v_add_nc_u32_e32 v53, 0x1d4, v66
	scratch_store_b64 off, v[53:54], off    ; 8-byte Folded Spill
	s_waitcnt vmcnt(12)
	ds_store_b128 v52, v[0:3]
	s_waitcnt vmcnt(11)
	ds_store_b128 v52, v[4:7] offset:2496
	s_waitcnt vmcnt(10)
	ds_store_b128 v52, v[8:11] offset:4992
	;; [unrolled: 2-line block ×12, first 2 shown]
.LBB0_13:
	s_or_b32 exec_lo, exec_lo, s1
	v_lshl_add_u32 v88, v66, 4, 0
	s_load_b64 s[2:3], s[2:3], 0x0
	s_waitcnt lgkmcnt(0)
	s_waitcnt_vscnt null, 0x0
	s_barrier
	buffer_gl0_inv
	ds_load_b128 v[4:7], v88
	ds_load_b128 v[24:27], v88 offset:2496
	ds_load_b128 v[32:35], v88 offset:4992
	ds_load_b128 v[28:31], v88 offset:7488
	s_mov_b32 s24, 0x42a4c3d2
	s_mov_b32 s26, 0x66966769
	;; [unrolled: 1-line block ×18, first 2 shown]
	s_waitcnt lgkmcnt(2)
	v_add_f64 v[0:1], v[4:5], v[24:25]
	v_add_f64 v[2:3], v[6:7], v[26:27]
	s_mov_b32 s1, 0x3fec55a7
	s_mov_b32 s5, 0x3fe22d96
	;; [unrolled: 1-line block ×16, first 2 shown]
	s_waitcnt lgkmcnt(1)
	s_delay_alu instid0(VALU_DEP_2) | instskip(NEXT) | instid1(VALU_DEP_2)
	v_add_f64 v[16:17], v[0:1], v[32:33]
	v_add_f64 v[18:19], v[2:3], v[34:35]
	ds_load_b128 v[0:3], v88 offset:29952
	ds_load_b128 v[12:15], v88 offset:24960
	;; [unrolled: 1-line block ×3, first 2 shown]
	s_waitcnt lgkmcnt(1)
	v_add_f64 v[74:75], v[30:31], -v[14:15]
	v_add_f64 v[44:45], v[26:27], -v[2:3]
	;; [unrolled: 1-line block ×3, first 2 shown]
	v_add_f64 v[97:98], v[30:31], v[14:15]
	s_waitcnt lgkmcnt(0)
	v_add_f64 v[60:61], v[34:35], -v[10:11]
	v_add_f64 v[62:63], v[32:33], -v[8:9]
	v_add_f64 v[86:87], v[24:25], v[0:1]
	v_add_f64 v[89:90], v[26:27], v[2:3]
	v_add_f64 v[76:77], v[28:29], -v[12:13]
	v_add_f64 v[32:33], v[32:33], v[8:9]
	v_add_f64 v[34:35], v[34:35], v[10:11]
	;; [unrolled: 1-line block ×5, first 2 shown]
	ds_load_b128 v[20:23], v88 offset:19968
	ds_load_b128 v[16:19], v88 offset:22464
	ds_load_b128 v[40:43], v88 offset:9984
	ds_load_b128 v[36:39], v88 offset:12480
	ds_load_b128 v[50:53], v88 offset:14976
	ds_load_b128 v[54:57], v88 offset:17472
	s_waitcnt lgkmcnt(0)
	s_barrier
	buffer_gl0_inv
	v_add_f64 v[78:79], v[42:43], -v[18:19]
	v_add_f64 v[82:83], v[38:39], -v[22:23]
	;; [unrolled: 1-line block ×3, first 2 shown]
	v_add_f64 v[99:100], v[36:37], v[20:21]
	v_add_f64 v[30:31], v[38:39], v[22:23]
	v_mul_f64 v[101:102], v[44:45], s[18:19]
	v_mul_f64 v[103:104], v[44:45], s[24:25]
	;; [unrolled: 1-line block ×12, first 2 shown]
	v_add_f64 v[46:47], v[46:47], v[40:41]
	v_add_f64 v[48:49], v[48:49], v[42:43]
	v_add_f64 v[93:94], v[52:53], -v[56:57]
	v_add_f64 v[95:96], v[50:51], -v[54:55]
	v_add_f64 v[26:27], v[50:51], v[54:55]
	v_add_f64 v[24:25], v[52:53], v[56:57]
	v_mul_f64 v[121:122], v[60:61], s[28:29]
	v_mul_f64 v[123:124], v[62:63], s[28:29]
	;; [unrolled: 1-line block ×5, first 2 shown]
	s_mov_b32 s19, 0x3fddbe06
	v_mul_f64 v[163:164], v[60:61], s[30:31]
	v_mul_f64 v[165:166], v[62:63], s[30:31]
	;; [unrolled: 1-line block ×6, first 2 shown]
	v_add_f64 v[80:81], v[40:41], -v[16:17]
	v_mul_f64 v[125:126], v[74:75], s[20:21]
	v_mul_f64 v[127:128], v[76:77], s[20:21]
	;; [unrolled: 1-line block ×7, first 2 shown]
	v_fma_f64 v[207:208], v[86:87], s[0:1], -v[101:102]
	v_fma_f64 v[101:102], v[86:87], s[0:1], v[101:102]
	v_fma_f64 v[209:210], v[86:87], s[4:5], -v[103:104]
	v_mul_f64 v[169:170], v[76:77], s[24:25]
	v_fma_f64 v[211:212], v[86:87], s[14:15], -v[109:110]
	v_fma_f64 v[109:110], v[86:87], s[14:15], v[109:110]
	v_fma_f64 v[213:214], v[86:87], s[16:17], -v[44:45]
	v_fma_f64 v[215:216], v[89:90], s[0:1], v[111:112]
	v_fma_f64 v[44:45], v[86:87], s[16:17], v[44:45]
	;; [unrolled: 1-line block ×5, first 2 shown]
	v_add_f64 v[36:37], v[46:47], v[36:37]
	v_add_f64 v[38:39], v[48:49], v[38:39]
	v_mul_f64 v[46:47], v[62:63], s[34:35]
	v_mul_f64 v[62:63], v[62:63], s[18:19]
	v_fma_f64 v[223:224], v[89:90], s[16:17], v[58:59]
	v_fma_f64 v[115:116], v[89:90], s[10:11], -v[115:116]
	v_fma_f64 v[117:118], v[89:90], s[12:13], -v[117:118]
	;; [unrolled: 1-line block ×4, first 2 shown]
	v_fma_f64 v[225:226], v[34:35], s[12:13], v[123:124]
	v_fma_f64 v[231:232], v[32:33], s[16:17], -v[137:138]
	v_fma_f64 v[233:234], v[34:35], s[16:17], v[139:140]
	v_fma_f64 v[239:240], v[32:33], s[14:15], -v[151:152]
	v_mul_f64 v[181:182], v[76:77], s[22:23]
	v_mul_f64 v[201:202], v[76:77], s[26:27]
	;; [unrolled: 1-line block ×3, first 2 shown]
	v_fma_f64 v[243:244], v[32:33], s[10:11], -v[163:164]
	v_fma_f64 v[245:246], v[34:35], s[10:11], v[165:166]
	v_fma_f64 v[251:252], v[91:92], s[14:15], -v[179:180]
	v_fma_f64 v[137:138], v[32:33], s[16:17], v[137:138]
	v_fma_f64 v[151:152], v[32:33], s[14:15], v[151:152]
	;; [unrolled: 1-line block ×3, first 2 shown]
	v_fma_f64 v[123:124], v[34:35], s[12:13], -v[123:124]
	v_fma_f64 v[139:140], v[34:35], s[16:17], -v[139:140]
	;; [unrolled: 1-line block ×3, first 2 shown]
	v_add_f64 v[40:41], v[40:41], v[16:17]
	v_add_f64 v[207:208], v[4:5], v[207:208]
	;; [unrolled: 1-line block ×9, first 2 shown]
	v_mul_f64 v[129:130], v[78:79], s[34:35]
	v_add_f64 v[217:218], v[6:7], v[217:218]
	v_add_f64 v[219:220], v[6:7], v[219:220]
	;; [unrolled: 1-line block ×5, first 2 shown]
	v_fma_f64 v[50:51], v[86:87], s[4:5], v[103:104]
	v_fma_f64 v[52:53], v[86:87], s[10:11], -v[105:106]
	v_fma_f64 v[103:104], v[86:87], s[10:11], v[105:106]
	v_fma_f64 v[105:106], v[86:87], s[12:13], -v[107:108]
	;; [unrolled: 2-line block ×4, first 2 shown]
	v_fma_f64 v[89:90], v[32:33], s[12:13], -v[121:122]
	v_fma_f64 v[241:242], v[34:35], s[14:15], v[46:47]
	v_add_f64 v[223:224], v[6:7], v[223:224]
	v_fma_f64 v[121:122], v[32:33], s[12:13], v[121:122]
	v_add_f64 v[115:116], v[6:7], v[115:116]
	v_add_f64 v[117:118], v[6:7], v[117:118]
	;; [unrolled: 1-line block ×3, first 2 shown]
	v_fma_f64 v[46:47], v[34:35], s[14:15], -v[46:47]
	v_mul_f64 v[131:132], v[80:81], s[34:35]
	v_fma_f64 v[227:228], v[91:92], s[16:17], -v[125:126]
	v_fma_f64 v[229:230], v[97:98], s[16:17], v[127:128]
	v_mul_f64 v[48:49], v[78:79], s[26:27]
	v_mul_f64 v[153:154], v[80:81], s[26:27]
	;; [unrolled: 1-line block ×8, first 2 shown]
	v_fma_f64 v[235:236], v[91:92], s[12:13], -v[141:142]
	v_fma_f64 v[237:238], v[97:98], s[12:13], v[143:144]
	v_mul_f64 v[78:79], v[78:79], s[18:19]
	v_mul_f64 v[80:81], v[80:81], s[18:19]
	v_fma_f64 v[247:248], v[91:92], s[4:5], -v[167:168]
	v_fma_f64 v[125:126], v[91:92], s[16:17], v[125:126]
	v_add_f64 v[217:218], v[233:234], v[217:218]
	v_fma_f64 v[141:142], v[91:92], s[12:13], v[141:142]
	v_fma_f64 v[167:168], v[91:92], s[4:5], v[167:168]
	v_add_f64 v[36:37], v[36:37], v[54:55]
	v_add_f64 v[38:39], v[38:39], v[56:57]
	v_fma_f64 v[56:57], v[32:33], s[4:5], -v[195:196]
	v_add_f64 v[52:53], v[4:5], v[52:53]
	v_fma_f64 v[195:196], v[32:33], s[4:5], v[195:196]
	v_add_f64 v[105:106], v[4:5], v[105:106]
	v_add_f64 v[50:51], v[4:5], v[50:51]
	;; [unrolled: 1-line block ×9, first 2 shown]
	v_fma_f64 v[44:45], v[34:35], s[4:5], v[197:198]
	v_fma_f64 v[58:59], v[34:35], s[4:5], -v[197:198]
	v_add_f64 v[89:90], v[89:90], v[209:210]
	v_fma_f64 v[197:198], v[91:92], s[10:11], -v[199:200]
	v_fma_f64 v[199:200], v[91:92], s[10:11], v[199:200]
	v_add_f64 v[219:220], v[241:242], v[219:220]
	v_fma_f64 v[249:250], v[97:98], s[4:5], v[169:170]
	v_add_f64 v[211:212], v[243:244], v[211:212]
	v_add_f64 v[221:222], v[245:246], v[221:222]
	v_fma_f64 v[54:55], v[97:98], s[14:15], v[181:182]
	v_fma_f64 v[127:128], v[97:98], s[16:17], -v[127:128]
	v_fma_f64 v[169:170], v[97:98], s[4:5], -v[169:170]
	;; [unrolled: 1-line block ×3, first 2 shown]
	v_add_f64 v[46:47], v[46:47], v[117:118]
	v_add_f64 v[109:110], v[163:164], v[109:110]
	;; [unrolled: 1-line block ×3, first 2 shown]
	v_fma_f64 v[143:144], v[97:98], s[12:13], -v[143:144]
	v_add_f64 v[115:116], v[139:140], v[115:116]
	v_mul_f64 v[133:134], v[82:83], s[30:31]
	v_mul_f64 v[135:136], v[84:85], s[30:31]
	v_fma_f64 v[233:234], v[40:41], s[14:15], -v[129:130]
	v_mul_f64 v[145:146], v[82:83], s[24:25]
	v_mul_f64 v[147:148], v[84:85], s[24:25]
	v_add_f64 v[217:218], v[237:238], v[217:218]
	v_add_f64 v[20:21], v[36:37], v[20:21]
	;; [unrolled: 1-line block ×3, first 2 shown]
	v_fma_f64 v[36:37], v[32:33], s[0:1], -v[60:61]
	v_fma_f64 v[38:39], v[91:92], s[14:15], v[179:180]
	v_fma_f64 v[179:180], v[34:35], s[0:1], v[62:63]
	;; [unrolled: 1-line block ×3, first 2 shown]
	v_fma_f64 v[34:35], v[34:35], s[0:1], -v[62:63]
	v_fma_f64 v[62:63], v[91:92], s[0:1], -v[74:75]
	v_add_f64 v[111:112], v[225:226], v[111:112]
	v_add_f64 v[52:53], v[231:232], v[52:53]
	;; [unrolled: 1-line block ×3, first 2 shown]
	v_fma_f64 v[74:75], v[91:92], s[0:1], v[74:75]
	v_fma_f64 v[91:92], v[97:98], s[0:1], v[76:77]
	;; [unrolled: 1-line block ×3, first 2 shown]
	v_fma_f64 v[201:202], v[97:98], s[10:11], -v[201:202]
	v_fma_f64 v[76:77], v[97:98], s[0:1], -v[76:77]
	v_add_f64 v[101:102], v[195:196], v[101:102]
	v_add_f64 v[58:59], v[58:59], v[86:87]
	;; [unrolled: 1-line block ×8, first 2 shown]
	v_fma_f64 v[239:240], v[42:43], s[14:15], v[131:132]
	v_add_f64 v[89:90], v[227:228], v[89:90]
	v_fma_f64 v[237:238], v[40:41], s[0:1], -v[78:79]
	v_mul_f64 v[155:156], v[82:83], s[40:41]
	v_mul_f64 v[157:158], v[84:85], s[40:41]
	v_fma_f64 v[215:216], v[40:41], s[10:11], -v[48:49]
	v_fma_f64 v[195:196], v[42:43], s[10:11], v[153:154]
	v_mul_f64 v[187:188], v[82:83], s[28:29]
	v_mul_f64 v[189:190], v[84:85], s[28:29]
	;; [unrolled: 1-line block ×6, first 2 shown]
	v_fma_f64 v[151:152], v[40:41], s[16:17], -v[171:172]
	v_fma_f64 v[117:118], v[42:43], s[16:17], v[173:174]
	v_add_f64 v[211:212], v[247:248], v[211:212]
	v_add_f64 v[36:37], v[36:37], v[213:214]
	;; [unrolled: 1-line block ×6, first 2 shown]
	v_fma_f64 v[32:33], v[40:41], s[4:5], -v[183:184]
	v_add_f64 v[111:112], v[229:230], v[111:112]
	v_add_f64 v[52:53], v[235:236], v[52:53]
	;; [unrolled: 1-line block ×3, first 2 shown]
	v_fma_f64 v[105:106], v[42:43], s[0:1], v[80:81]
	v_add_f64 v[91:92], v[91:92], v[219:220]
	v_fma_f64 v[34:35], v[42:43], s[4:5], v[185:186]
	v_fma_f64 v[235:236], v[40:41], s[12:13], -v[203:204]
	v_fma_f64 v[203:204], v[40:41], s[12:13], v[203:204]
	v_fma_f64 v[129:130], v[40:41], s[14:15], v[129:130]
	;; [unrolled: 1-line block ×6, first 2 shown]
	v_fma_f64 v[205:206], v[42:43], s[12:13], -v[205:206]
	v_add_f64 v[16:17], v[20:21], v[16:17]
	v_add_f64 v[18:19], v[22:23], v[18:19]
	v_fma_f64 v[20:21], v[42:43], s[14:15], -v[131:132]
	v_fma_f64 v[22:23], v[42:43], s[10:11], -v[153:154]
	;; [unrolled: 1-line block ×4, first 2 shown]
	v_fma_f64 v[40:41], v[40:41], s[0:1], v[78:79]
	v_add_f64 v[78:79], v[199:200], v[101:102]
	v_add_f64 v[58:59], v[201:202], v[58:59]
	;; [unrolled: 1-line block ×9, first 2 shown]
	v_fma_f64 v[42:43], v[42:43], s[0:1], -v[80:81]
	v_add_f64 v[80:81], v[143:144], v[115:116]
	v_add_f64 v[36:37], v[251:252], v[36:37]
	;; [unrolled: 1-line block ×7, first 2 shown]
	v_mul_f64 v[149:150], v[93:94], s[22:23]
	v_mul_f64 v[28:29], v[95:96], s[22:23]
	;; [unrolled: 1-line block ×12, first 2 shown]
	v_fma_f64 v[241:242], v[99:100], s[10:11], -v[133:134]
	v_fma_f64 v[243:244], v[30:31], s[10:11], v[135:136]
	v_add_f64 v[60:61], v[233:234], v[89:90]
	v_add_f64 v[89:90], v[239:240], v[111:112]
	v_fma_f64 v[245:246], v[99:100], s[4:5], -v[145:146]
	v_fma_f64 v[213:214], v[30:31], s[4:5], v[147:148]
	v_add_f64 v[52:53], v[237:238], v[52:53]
	v_add_f64 v[105:106], v[105:106], v[217:218]
	;; [unrolled: 4-line block ×4, first 2 shown]
	v_fma_f64 v[139:140], v[99:100], s[12:13], -v[187:188]
	v_fma_f64 v[227:228], v[30:31], s[12:13], v[189:190]
	v_fma_f64 v[173:174], v[99:100], s[14:15], -v[97:98]
	v_fma_f64 v[97:98], v[99:100], s[14:15], v[97:98]
	v_add_f64 v[32:33], v[32:33], v[36:37]
	v_fma_f64 v[133:134], v[99:100], s[10:11], v[133:134]
	v_add_f64 v[34:35], v[34:35], v[54:55]
	;; [unrolled: 2-line block ×3, first 2 shown]
	v_add_f64 v[14:15], v[18:19], v[14:15]
	v_fma_f64 v[16:17], v[99:100], s[16:17], v[155:156]
	v_fma_f64 v[18:19], v[99:100], s[12:13], v[187:188]
	v_fma_f64 v[36:37], v[30:31], s[14:15], -v[209:210]
	v_fma_f64 v[54:55], v[30:31], s[10:11], -v[135:136]
	;; [unrolled: 1-line block ×3, first 2 shown]
	v_fma_f64 v[82:83], v[99:100], s[0:1], v[82:83]
	v_fma_f64 v[84:85], v[30:31], s[0:1], -v[84:85]
	v_add_f64 v[78:79], v[203:204], v[78:79]
	v_add_f64 v[58:59], v[205:206], v[58:59]
	;; [unrolled: 1-line block ×11, first 2 shown]
	v_fma_f64 v[117:118], v[30:31], s[16:17], -v[157:158]
	v_fma_f64 v[76:77], v[30:31], s[14:15], v[209:210]
	v_fma_f64 v[30:31], v[30:31], s[4:5], -v[147:148]
	v_add_f64 v[42:43], v[42:43], v[80:81]
	v_add_f64 v[56:57], v[235:236], v[56:57]
	;; [unrolled: 1-line block ×3, first 2 shown]
	v_fma_f64 v[99:100], v[26:27], s[0:1], -v[93:94]
	v_fma_f64 v[101:102], v[24:25], s[0:1], v[95:96]
	v_add_f64 v[60:61], v[241:242], v[60:61]
	v_add_f64 v[80:81], v[243:244], v[89:90]
	v_fma_f64 v[223:224], v[26:27], s[14:15], -v[149:150]
	v_fma_f64 v[207:208], v[24:25], s[14:15], v[28:29]
	v_add_f64 v[52:53], v[245:246], v[52:53]
	v_add_f64 v[89:90], v[213:214], v[105:106]
	;; [unrolled: 4-line block ×4, first 2 shown]
	v_fma_f64 v[229:230], v[26:27], s[10:11], -v[191:192]
	v_add_f64 v[32:33], v[139:140], v[32:33]
	v_add_f64 v[34:35], v[227:228], v[34:35]
	v_fma_f64 v[109:110], v[24:25], s[10:11], v[193:194]
	v_fma_f64 v[121:122], v[26:27], s[4:5], v[159:160]
	;; [unrolled: 1-line block ×5, first 2 shown]
	v_add_f64 v[78:79], v[97:98], v[78:79]
	v_add_f64 v[58:59], v[36:37], v[58:59]
	;; [unrolled: 1-line block ×10, first 2 shown]
	v_fma_f64 v[97:98], v[24:25], s[10:11], -v[193:194]
	v_add_f64 v[48:49], v[117:118], v[22:23]
	v_fma_f64 v[117:118], v[24:25], s[12:13], -v[177:178]
	v_fma_f64 v[115:116], v[26:27], s[14:15], v[149:150]
	v_fma_f64 v[119:120], v[24:25], s[4:5], -v[161:162]
	v_fma_f64 v[84:85], v[24:25], s[14:15], -v[28:29]
	v_add_f64 v[30:31], v[30:31], v[42:43]
	v_fma_f64 v[95:96], v[24:25], s[0:1], -v[95:96]
	v_add_f64 v[105:106], v[12:13], v[8:9]
	v_add_f64 v[107:108], v[14:15], v[10:11]
	v_fma_f64 v[113:114], v[26:27], s[16:17], v[225:226]
	v_fma_f64 v[129:130], v[24:25], s[16:17], -v[231:232]
	v_fma_f64 v[111:112], v[26:27], s[16:17], -v[225:226]
	v_add_f64 v[56:57], v[173:174], v[56:57]
	v_fma_f64 v[131:132], v[24:25], s[16:17], v[231:232]
	v_add_f64 v[76:77], v[76:77], v[44:45]
	v_add_f64 v[4:5], v[99:100], v[60:61]
	;; [unrolled: 1-line block ×11, first 2 shown]
	v_mad_u32_u24 v52, 0xc0, v66, v88
	v_lshl_add_u32 v91, v70, 4, 0
	v_lshl_add_u32 v158, v73, 4, 0
	v_cmp_gt_u32_e64 s0, 39, v66
	v_add_f64 v[28:29], v[93:94], v[36:37]
                                        ; implicit-def: $vgpr62_vgpr63
	v_add_f64 v[36:37], v[121:122], v[40:41]
	v_add_f64 v[40:41], v[125:126], v[46:47]
	;; [unrolled: 1-line block ×7, first 2 shown]
                                        ; implicit-def: $vgpr54_vgpr55
	v_add_f64 v[34:35], v[84:85], v[30:31]
	v_add_f64 v[30:31], v[95:96], v[50:51]
	;; [unrolled: 1-line block ×6, first 2 shown]
                                        ; implicit-def: $vgpr58_vgpr59
	v_add_f64 v[48:49], v[111:112], v[56:57]
	v_add_f64 v[50:51], v[131:132], v[76:77]
	ds_store_b128 v52, v[4:7] offset:32
	ds_store_b128 v52, v[8:11] offset:48
	;; [unrolled: 1-line block ×11, first 2 shown]
	ds_store_b128 v52, v[20:23]
	ds_store_b128 v52, v[48:51] offset:16
	s_waitcnt lgkmcnt(0)
	s_barrier
	buffer_gl0_inv
	ds_load_b128 v[8:11], v88
	ds_load_b128 v[44:47], v88 offset:8112
	ds_load_b128 v[32:35], v88 offset:16224
	ds_load_b128 v[16:19], v88 offset:18720
	ds_load_b128 v[12:15], v91
	ds_load_b128 v[4:7], v158
	ds_load_b128 v[36:39], v88 offset:10608
	ds_load_b128 v[20:23], v88 offset:13104
	;; [unrolled: 1-line block ×6, first 2 shown]
	scratch_load_b64 v[52:53], off, off     ; 8-byte Folded Reload
	s_waitcnt vmcnt(0)
	v_lshl_add_u32 v157, v52, 4, 0
	s_and_saveexec_b32 s1, s0
	s_cbranch_execz .LBB0_15
; %bb.14:
	ds_load_b128 v[52:55], v88 offset:15600
	ds_load_b128 v[56:59], v88 offset:23712
	ds_load_b128 v[0:3], v157
	ds_load_b128 v[60:63], v88 offset:31824
.LBB0_15:
	s_or_b32 exec_lo, exec_lo, s1
	scratch_load_b64 v[75:76], off, off     ; 8-byte Folded Reload
	v_and_b32_e32 v67, 0xff, v66
	v_and_b32_e32 v71, 0xffff, v70
	;; [unrolled: 1-line block ×3, first 2 shown]
	s_delay_alu instid0(VALU_DEP_3) | instskip(NEXT) | instid1(VALU_DEP_3)
	v_mul_lo_u16 v67, 0x4f, v67
	v_mul_u32_u24_e32 v71, 0x4ec5, v71
	s_delay_alu instid0(VALU_DEP_2) | instskip(NEXT) | instid1(VALU_DEP_2)
	v_lshrrev_b16 v72, 10, v67
	v_lshrrev_b32_e32 v89, 18, v71
	s_delay_alu instid0(VALU_DEP_2) | instskip(NEXT) | instid1(VALU_DEP_2)
	v_mul_lo_u16 v77, v72, 13
	v_mul_lo_u16 v78, v89, 13
	v_and_b32_e32 v72, 0xffff, v72
	s_delay_alu instid0(VALU_DEP_3) | instskip(NEXT) | instid1(VALU_DEP_2)
	v_sub_nc_u16 v77, v66, v77
	v_mul_u32_u24_e32 v72, 0x340, v72
	s_delay_alu instid0(VALU_DEP_2) | instskip(SKIP_1) | instid1(VALU_DEP_2)
	v_and_b32_e32 v154, 0xff, v77
	v_sub_nc_u16 v77, v70, v78
	v_mul_u32_u24_e32 v80, 3, v154
	s_delay_alu instid0(VALU_DEP_2) | instskip(NEXT) | instid1(VALU_DEP_2)
	v_and_b32_e32 v155, 0xffff, v77
	v_lshlrev_b32_e32 v86, 4, v80
	s_delay_alu instid0(VALU_DEP_2) | instskip(NEXT) | instid1(VALU_DEP_1)
	v_mul_u32_u24_e32 v87, 3, v155
	v_lshlrev_b32_e32 v87, 4, v87
	s_waitcnt vmcnt(0)
	v_mov_b32_e32 v81, v75
	v_mul_u32_u24_e32 v75, 0x4ec5, v74
	s_delay_alu instid0(VALU_DEP_2) | instskip(NEXT) | instid1(VALU_DEP_2)
	v_and_b32_e32 v76, 0xffff, v81
	v_lshrrev_b32_e32 v90, 18, v75
	s_delay_alu instid0(VALU_DEP_2) | instskip(NEXT) | instid1(VALU_DEP_2)
	v_mul_u32_u24_e32 v74, 0x4ec5, v76
	v_mul_lo_u16 v78, v90, 13
	s_delay_alu instid0(VALU_DEP_2) | instskip(NEXT) | instid1(VALU_DEP_2)
	v_lshrrev_b32_e32 v76, 18, v74
	v_sub_nc_u16 v77, v73, v78
	s_delay_alu instid0(VALU_DEP_2) | instskip(NEXT) | instid1(VALU_DEP_2)
	v_mul_lo_u16 v79, v76, 13
	v_and_b32_e32 v156, 0xffff, v77
	s_delay_alu instid0(VALU_DEP_2) | instskip(NEXT) | instid1(VALU_DEP_2)
	v_sub_nc_u16 v78, v81, v79
	v_mul_u32_u24_e32 v100, 3, v156
	s_delay_alu instid0(VALU_DEP_2)
	v_and_b32_e32 v77, 0xffff, v78
	s_clause 0x3
	global_load_b128 v[78:81], v86, s[8:9] offset:16
	global_load_b128 v[82:85], v86, s[8:9]
	global_load_b128 v[92:95], v86, s[8:9] offset:32
	global_load_b128 v[96:99], v87, s[8:9]
	v_lshlrev_b32_e32 v116, 4, v100
	v_mul_u32_u24_e32 v86, 3, v77
	s_clause 0x2
	global_load_b128 v[100:103], v87, s[8:9] offset:16
	global_load_b128 v[104:107], v87, s[8:9] offset:32
	global_load_b128 v[108:111], v116, s[8:9]
	v_lshlrev_b32_e32 v86, 4, v86
	s_clause 0x4
	global_load_b128 v[112:115], v116, s[8:9] offset:16
	global_load_b128 v[116:119], v116, s[8:9] offset:32
	global_load_b128 v[120:123], v86, s[8:9]
	global_load_b128 v[124:127], v86, s[8:9] offset:16
	global_load_b128 v[128:131], v86, s[8:9] offset:32
	s_waitcnt vmcnt(0) lgkmcnt(0)
	s_barrier
	buffer_gl0_inv
	v_mul_f64 v[132:133], v[34:35], v[80:81]
	v_mul_f64 v[86:87], v[46:47], v[84:85]
	;; [unrolled: 1-line block ×24, first 2 shown]
	v_fma_f64 v[32:33], v[32:33], v[78:79], -v[132:133]
	v_fma_f64 v[44:45], v[44:45], v[82:83], -v[86:87]
	v_fma_f64 v[46:47], v[46:47], v[82:83], v[84:85]
	v_fma_f64 v[34:35], v[34:35], v[78:79], v[80:81]
	v_fma_f64 v[48:49], v[48:49], v[92:93], -v[134:135]
	v_fma_f64 v[50:51], v[50:51], v[92:93], v[94:95]
	v_fma_f64 v[36:37], v[36:37], v[96:97], -v[136:137]
	;; [unrolled: 2-line block ×10, first 2 shown]
	v_fma_f64 v[62:63], v[62:63], v[128:129], v[130:131]
	v_add_f64 v[78:79], v[8:9], -v[32:33]
	v_add_f64 v[80:81], v[10:11], -v[34:35]
	;; [unrolled: 1-line block ×16, first 2 shown]
	v_fma_f64 v[8:9], v[8:9], 2.0, -v[78:79]
	v_fma_f64 v[10:11], v[10:11], 2.0, -v[80:81]
	;; [unrolled: 1-line block ×4, first 2 shown]
	v_add_f64 v[16:17], v[78:79], -v[34:35]
	v_add_f64 v[18:19], v[80:81], v[32:33]
	v_fma_f64 v[60:61], v[12:13], 2.0, -v[48:49]
	v_fma_f64 v[62:63], v[14:15], 2.0, -v[50:51]
	;; [unrolled: 1-line block ×8, first 2 shown]
	v_add_f64 v[20:21], v[48:49], -v[42:43]
	v_add_f64 v[22:23], v[50:51], v[40:41]
	v_fma_f64 v[0:1], v[0:1], 2.0, -v[94:95]
	v_fma_f64 v[2:3], v[2:3], 2.0, -v[96:97]
	v_fma_f64 v[44:45], v[52:53], 2.0, -v[56:57]
	v_fma_f64 v[46:47], v[54:55], 2.0, -v[58:59]
	v_add_f64 v[32:33], v[82:83], -v[92:93]
	v_add_f64 v[34:35], v[84:85], v[86:87]
	v_add_f64 v[24:25], v[8:9], -v[24:25]
	v_add_f64 v[26:27], v[10:11], -v[26:27]
	v_fma_f64 v[40:41], v[78:79], 2.0, -v[16:17]
	v_fma_f64 v[42:43], v[80:81], 2.0, -v[18:19]
	v_lshlrev_b32_e32 v80, 4, v154
	v_mul_u32_u24_e32 v78, 0x340, v89
	v_add_f64 v[28:29], v[60:61], -v[12:13]
	v_add_f64 v[30:31], v[62:63], -v[14:15]
	;; [unrolled: 1-line block ×3, first 2 shown]
	v_add_f64 v[14:15], v[96:97], v[56:57]
	v_lshlrev_b32_e32 v81, 4, v155
	v_mul_u32_u24_e32 v79, 0x340, v90
	v_add_f64 v[36:37], v[98:99], -v[4:5]
	v_add_f64 v[38:39], v[100:101], -v[6:7]
	v_add3_u32 v72, 0, v72, v80
	v_add3_u32 v78, 0, v78, v81
	v_add_f64 v[4:5], v[0:1], -v[44:45]
	v_add_f64 v[6:7], v[2:3], -v[46:47]
	v_fma_f64 v[44:45], v[48:49], 2.0, -v[20:21]
	v_fma_f64 v[46:47], v[50:51], 2.0, -v[22:23]
	v_fma_f64 v[56:57], v[82:83], 2.0, -v[32:33]
	v_fma_f64 v[58:59], v[84:85], 2.0, -v[34:35]
	v_lshlrev_b32_e32 v82, 4, v156
	s_delay_alu instid0(VALU_DEP_1)
	v_add3_u32 v79, 0, v79, v82
	v_fma_f64 v[48:49], v[8:9], 2.0, -v[24:25]
	v_fma_f64 v[50:51], v[10:11], 2.0, -v[26:27]
	;; [unrolled: 1-line block ×8, first 2 shown]
	ds_store_b128 v72, v[24:27] offset:416
	ds_store_b128 v72, v[16:19] offset:624
	ds_store_b128 v72, v[48:51]
	ds_store_b128 v72, v[40:43] offset:208
	ds_store_b128 v78, v[52:55]
	ds_store_b128 v78, v[44:47] offset:208
	ds_store_b128 v78, v[28:31] offset:416
	;; [unrolled: 1-line block ×3, first 2 shown]
	ds_store_b128 v79, v[60:63]
	ds_store_b128 v79, v[56:59] offset:208
	ds_store_b128 v79, v[36:39] offset:416
	;; [unrolled: 1-line block ×3, first 2 shown]
	v_fma_f64 v[0:1], v[0:1], 2.0, -v[4:5]
	v_fma_f64 v[2:3], v[2:3], 2.0, -v[6:7]
	s_and_saveexec_b32 s1, s0
	s_cbranch_execz .LBB0_17
; %bb.16:
	v_mul_lo_u16 v16, v76, 52
	v_lshlrev_b32_e32 v17, 4, v77
	s_delay_alu instid0(VALU_DEP_2) | instskip(NEXT) | instid1(VALU_DEP_1)
	v_and_b32_e32 v16, 0xffff, v16
	v_lshlrev_b32_e32 v16, 4, v16
	s_delay_alu instid0(VALU_DEP_1)
	v_add3_u32 v16, 0, v17, v16
	ds_store_b128 v16, v[0:3]
	ds_store_b128 v16, v[8:11] offset:208
	ds_store_b128 v16, v[4:7] offset:416
	;; [unrolled: 1-line block ×3, first 2 shown]
.LBB0_17:
	s_or_b32 exec_lo, exec_lo, s1
	s_waitcnt lgkmcnt(0)
	s_barrier
	buffer_gl0_inv
	ds_load_b128 v[16:19], v88
	ds_load_b128 v[40:43], v88 offset:10816
	ds_load_b128 v[32:35], v88 offset:13312
	;; [unrolled: 1-line block ×5, first 2 shown]
	ds_load_b128 v[20:23], v158
	ds_load_b128 v[12:15], v157
	ds_load_b128 v[56:59], v88 offset:21632
	ds_load_b128 v[44:47], v88 offset:18304
	ds_load_b128 v[24:27], v91
	ds_load_b128 v[48:51], v88 offset:29120
	v_cmp_gt_u32_e64 s0, 52, v66
	s_delay_alu instid0(VALU_DEP_1)
	s_and_saveexec_b32 s1, s0
	s_cbranch_execz .LBB0_19
; %bb.18:
	ds_load_b128 v[0:3], v88 offset:9984
	ds_load_b128 v[8:11], v88 offset:20800
	;; [unrolled: 1-line block ×3, first 2 shown]
.LBB0_19:
	s_or_b32 exec_lo, exec_lo, s1
	v_lshrrev_b32_e32 v72, 20, v75
	scratch_load_b64 v[75:76], off, off     ; 8-byte Folded Reload
	v_lshrrev_b16 v67, 12, v67
	v_lshrrev_b32_e32 v71, 20, v71
	v_lshrrev_b32_e32 v89, 20, v74
	v_mul_lo_u16 v62, v72, 52
	s_mov_b32 s4, 0xe8584caa
	v_mul_lo_u16 v60, v67, 52
	v_mul_lo_u16 v61, v71, 52
	s_mov_b32 s5, 0x3febb67a
	v_sub_nc_u16 v62, v73, v62
	s_mov_b32 s11, 0xbfebb67a
	v_sub_nc_u16 v60, v66, v60
	v_sub_nc_u16 v61, v70, v61
	s_mov_b32 s10, s4
	v_and_b32_e32 v123, 0xffff, v62
	s_delay_alu instid0(VALU_DEP_3) | instskip(SKIP_2) | instid1(VALU_DEP_4)
	v_and_b32_e32 v90, 0xff, v60
	v_mul_lo_u16 v60, v89, 52
	v_and_b32_e32 v122, 0xffff, v61
	v_lshlrev_b32_e32 v86, 5, v123
	s_delay_alu instid0(VALU_DEP_4) | instskip(NEXT) | instid1(VALU_DEP_3)
	v_lshlrev_b32_e32 v74, 5, v90
	v_lshlrev_b32_e32 v82, 5, v122
	s_waitcnt vmcnt(0)
	v_sub_nc_u16 v78, v75, v60
	s_clause 0x1
	global_load_b128 v[60:63], v74, s[8:9] offset:624
	global_load_b128 v[74:77], v74, s[8:9] offset:640
	v_and_b32_e32 v124, 0xffff, v78
	s_clause 0x1
	global_load_b128 v[78:81], v82, s[8:9] offset:624
	global_load_b128 v[82:85], v82, s[8:9] offset:640
	v_lshlrev_b32_e32 v87, 5, v124
	s_clause 0x3
	global_load_b128 v[92:95], v86, s[8:9] offset:624
	global_load_b128 v[96:99], v86, s[8:9] offset:640
	;; [unrolled: 1-line block ×4, first 2 shown]
	s_waitcnt vmcnt(0) lgkmcnt(0)
	s_barrier
	buffer_gl0_inv
	v_mul_f64 v[86:87], v[42:43], v[62:63]
	v_mul_f64 v[108:109], v[58:59], v[76:77]
	v_mul_f64 v[62:63], v[40:41], v[62:63]
	v_mul_f64 v[76:77], v[56:57], v[76:77]
	v_mul_f64 v[110:111], v[34:35], v[80:81]
	v_mul_f64 v[112:113], v[54:55], v[84:85]
	v_mul_f64 v[80:81], v[32:33], v[80:81]
	v_mul_f64 v[84:85], v[52:53], v[84:85]
	v_mul_f64 v[114:115], v[30:31], v[94:95]
	v_mul_f64 v[116:117], v[38:39], v[98:99]
	v_mul_f64 v[94:95], v[28:29], v[94:95]
	v_mul_f64 v[98:99], v[36:37], v[98:99]
	v_mul_f64 v[118:119], v[46:47], v[102:103]
	v_mul_f64 v[120:121], v[50:51], v[106:107]
	v_mul_f64 v[102:103], v[44:45], v[102:103]
	v_mul_f64 v[106:107], v[48:49], v[106:107]
	v_fma_f64 v[40:41], v[40:41], v[60:61], -v[86:87]
	v_fma_f64 v[56:57], v[56:57], v[74:75], -v[108:109]
	v_fma_f64 v[42:43], v[42:43], v[60:61], v[62:63]
	v_fma_f64 v[58:59], v[58:59], v[74:75], v[76:77]
	v_fma_f64 v[32:33], v[32:33], v[78:79], -v[110:111]
	v_fma_f64 v[52:53], v[52:53], v[82:83], -v[112:113]
	v_fma_f64 v[34:35], v[34:35], v[78:79], v[80:81]
	v_fma_f64 v[54:55], v[54:55], v[82:83], v[84:85]
	;; [unrolled: 4-line block ×4, first 2 shown]
	v_add_f64 v[86:87], v[16:17], v[40:41]
	v_add_f64 v[60:61], v[40:41], v[56:57]
	v_add_f64 v[40:41], v[40:41], -v[56:57]
	v_add_f64 v[62:63], v[42:43], v[58:59]
	v_add_f64 v[92:93], v[42:43], -v[58:59]
	v_add_f64 v[42:43], v[18:19], v[42:43]
	v_add_f64 v[74:75], v[32:33], v[52:53]
	;; [unrolled: 1-line block ×9, first 2 shown]
	v_add_f64 v[106:107], v[34:35], -v[54:55]
	v_add_f64 v[82:83], v[44:45], v[48:49]
	v_add_f64 v[108:109], v[32:33], -v[52:53]
	v_add_f64 v[84:85], v[46:47], v[50:51]
	v_add_f64 v[102:103], v[12:13], v[44:45]
	v_add_f64 v[110:111], v[30:31], -v[38:39]
	v_add_f64 v[112:113], v[28:29], -v[36:37]
	v_add_f64 v[104:105], v[14:15], v[46:47]
	v_add_f64 v[114:115], v[46:47], -v[50:51]
	v_add_f64 v[116:117], v[44:45], -v[48:49]
	v_fma_f64 v[60:61], v[60:61], -0.5, v[16:17]
	v_fma_f64 v[62:63], v[62:63], -0.5, v[18:19]
	v_fma_f64 v[74:75], v[74:75], -0.5, v[24:25]
	v_add_f64 v[16:17], v[94:95], v[52:53]
	v_fma_f64 v[76:77], v[76:77], -0.5, v[26:27]
	v_add_f64 v[18:19], v[96:97], v[54:55]
	v_fma_f64 v[78:79], v[78:79], -0.5, v[20:21]
	v_add_nc_u32_e32 v20, 0x270, v66
	v_fma_f64 v[80:81], v[80:81], -0.5, v[22:23]
	v_add_f64 v[21:22], v[98:99], v[36:37]
	v_fma_f64 v[82:83], v[82:83], -0.5, v[12:13]
	v_add_f64 v[12:13], v[86:87], v[56:57]
	v_fma_f64 v[84:85], v[84:85], -0.5, v[14:15]
	v_add_f64 v[14:15], v[42:43], v[58:59]
	v_add_f64 v[23:24], v[100:101], v[38:39]
	v_add_f64 v[25:26], v[102:103], v[48:49]
	;; [unrolled: 1-line block ×3, first 2 shown]
	v_fma_f64 v[29:30], v[92:93], s[4:5], v[60:61]
	v_fma_f64 v[33:34], v[92:93], s[10:11], v[60:61]
	;; [unrolled: 1-line block ×4, first 2 shown]
	v_and_b32_e32 v61, 0xffff, v67
	v_fma_f64 v[37:38], v[106:107], s[4:5], v[74:75]
	v_fma_f64 v[41:42], v[106:107], s[10:11], v[74:75]
	;; [unrolled: 1-line block ×4, first 2 shown]
	v_mul_u32_u24_e32 v62, 0x9c0, v71
	v_fma_f64 v[45:46], v[110:111], s[4:5], v[78:79]
	v_fma_f64 v[49:50], v[110:111], s[10:11], v[78:79]
	;; [unrolled: 1-line block ×8, first 2 shown]
	v_mul_u32_u24_e32 v61, 0x9c0, v61
	v_lshlrev_b32_e32 v71, 4, v90
	v_mul_u32_u24_e32 v63, 0x9c0, v72
	v_lshlrev_b32_e32 v72, 4, v122
	;; [unrolled: 2-line block ×3, first 2 shown]
	v_lshlrev_b32_e32 v75, 4, v124
	v_add3_u32 v61, 0, v61, v71
	v_add3_u32 v62, 0, v62, v72
	s_delay_alu instid0(VALU_DEP_4) | instskip(NEXT) | instid1(VALU_DEP_4)
	v_add3_u32 v63, 0, v63, v74
	v_add3_u32 v67, 0, v67, v75
	ds_store_b128 v61, v[12:15]
	ds_store_b128 v61, v[29:32] offset:832
	ds_store_b128 v61, v[33:36] offset:1664
	ds_store_b128 v62, v[16:19]
	ds_store_b128 v62, v[37:40] offset:832
	ds_store_b128 v62, v[41:44] offset:1664
	;; [unrolled: 3-line block ×4, first 2 shown]
	s_and_saveexec_b32 s1, s0
	s_cbranch_execz .LBB0_21
; %bb.20:
	v_and_b32_e32 v12, 0xffff, v20
	s_delay_alu instid0(VALU_DEP_1) | instskip(NEXT) | instid1(VALU_DEP_1)
	v_mul_u32_u24_e32 v12, 0x4ec5, v12
	v_lshrrev_b32_e32 v12, 20, v12
	s_delay_alu instid0(VALU_DEP_1) | instskip(NEXT) | instid1(VALU_DEP_1)
	v_mul_lo_u16 v12, v12, 52
	v_sub_nc_u16 v12, v20, v12
	s_delay_alu instid0(VALU_DEP_1) | instskip(NEXT) | instid1(VALU_DEP_1)
	v_and_b32_e32 v25, 0xffff, v12
	v_lshlrev_b32_e32 v16, 5, v25
	s_clause 0x1
	global_load_b128 v[12:15], v16, s[8:9] offset:624
	global_load_b128 v[16:19], v16, s[8:9] offset:640
	s_waitcnt vmcnt(1)
	v_mul_f64 v[21:22], v[8:9], v[14:15]
	s_waitcnt vmcnt(0)
	v_mul_f64 v[23:24], v[4:5], v[18:19]
	v_mul_f64 v[14:15], v[10:11], v[14:15]
	;; [unrolled: 1-line block ×3, first 2 shown]
	s_delay_alu instid0(VALU_DEP_4) | instskip(NEXT) | instid1(VALU_DEP_4)
	v_fma_f64 v[10:11], v[10:11], v[12:13], v[21:22]
	v_fma_f64 v[6:7], v[6:7], v[16:17], v[23:24]
	s_delay_alu instid0(VALU_DEP_4) | instskip(NEXT) | instid1(VALU_DEP_4)
	v_fma_f64 v[8:9], v[8:9], v[12:13], -v[14:15]
	v_fma_f64 v[4:5], v[4:5], v[16:17], -v[18:19]
	s_delay_alu instid0(VALU_DEP_4) | instskip(NEXT) | instid1(VALU_DEP_4)
	v_add_f64 v[18:19], v[2:3], v[10:11]
	v_add_f64 v[12:13], v[10:11], v[6:7]
	v_add_f64 v[21:22], v[10:11], -v[6:7]
	s_delay_alu instid0(VALU_DEP_4)
	v_add_f64 v[14:15], v[8:9], v[4:5]
	v_add_f64 v[16:17], v[8:9], -v[4:5]
	v_add_f64 v[8:9], v[0:1], v[8:9]
	v_fma_f64 v[12:13], v[12:13], -0.5, v[2:3]
	v_add_f64 v[2:3], v[18:19], v[6:7]
	v_fma_f64 v[14:15], v[14:15], -0.5, v[0:1]
	s_delay_alu instid0(VALU_DEP_4) | instskip(NEXT) | instid1(VALU_DEP_4)
	v_add_f64 v[0:1], v[8:9], v[4:5]
	v_fma_f64 v[10:11], v[16:17], s[10:11], v[12:13]
	v_fma_f64 v[6:7], v[16:17], s[4:5], v[12:13]
	s_delay_alu instid0(VALU_DEP_4)
	v_fma_f64 v[8:9], v[21:22], s[4:5], v[14:15]
	v_fma_f64 v[4:5], v[21:22], s[10:11], v[14:15]
	v_lshl_add_u32 v12, v25, 4, 0
	ds_store_b128 v12, v[0:3] offset:29952
	ds_store_b128 v12, v[8:11] offset:30784
	ds_store_b128 v12, v[4:7] offset:31616
.LBB0_21:
	s_or_b32 exec_lo, exec_lo, s1
	v_mul_u32_u24_e32 v0, 12, v66
	s_waitcnt lgkmcnt(0)
	s_barrier
	buffer_gl0_inv
	s_mov_b32 s12, 0x1ea71119
	v_dual_mov_b32 v63, v158 :: v_dual_lshlrev_b32 v0, 4, v0
	s_mov_b32 s16, 0x2ef20147
	s_mov_b32 s15, 0xbfddbe06
	;; [unrolled: 1-line block ×3, first 2 shown]
	s_clause 0xb
	global_load_b128 v[21:24], v0, s[8:9] offset:2288
	global_load_b128 v[25:28], v0, s[8:9] offset:2464
	;; [unrolled: 1-line block ×12, first 2 shown]
	ds_load_b128 v[55:58], v91
	ds_load_b128 v[59:62], v88 offset:29952
	ds_load_b128 v[74:77], v158
	ds_load_b128 v[78:81], v88 offset:27456
	scratch_store_b32 off, v157, off offset:8 ; 4-byte Folded Spill
	ds_load_b128 v[82:85], v157
	ds_load_b128 v[92:95], v88 offset:24960
	ds_load_b128 v[96:99], v88 offset:22464
	;; [unrolled: 1-line block ×3, first 2 shown]
	ds_load_b128 v[0:3], v88
	ds_load_b128 v[104:107], v88 offset:12480
	ds_load_b128 v[108:111], v88 offset:14976
	;; [unrolled: 1-line block ×4, first 2 shown]
	s_mov_b32 s13, 0x3fe22d96
	s_mov_b32 s17, 0xbfedeba7
	;; [unrolled: 1-line block ×26, first 2 shown]
	s_waitcnt vmcnt(11) lgkmcnt(12)
	v_mul_f64 v[41:42], v[57:58], v[23:24]
	v_mul_f64 v[23:24], v[55:56], v[23:24]
	s_waitcnt vmcnt(9) lgkmcnt(10)
	v_mul_f64 v[120:121], v[76:77], v[31:32]
	s_waitcnt vmcnt(8) lgkmcnt(9)
	v_mul_f64 v[122:123], v[78:79], v[35:36]
	v_mul_f64 v[35:36], v[80:81], v[35:36]
	s_waitcnt vmcnt(6) lgkmcnt(7)
	v_mul_f64 v[128:129], v[92:93], v[45:46]
	v_mul_f64 v[45:46], v[94:95], v[45:46]
	;; [unrolled: 1-line block ×7, first 2 shown]
	s_waitcnt vmcnt(3) lgkmcnt(3)
	v_mul_f64 v[134:135], v[106:107], v[18:19]
	v_mul_f64 v[136:137], v[104:105], v[18:19]
	;; [unrolled: 1-line block ×6, first 2 shown]
	s_waitcnt vmcnt(2) lgkmcnt(2)
	v_mul_f64 v[138:139], v[110:111], v[14:15]
	v_mul_f64 v[140:141], v[108:109], v[14:15]
	s_waitcnt vmcnt(1) lgkmcnt(0)
	v_mul_f64 v[142:143], v[116:117], v[10:11]
	v_mul_f64 v[144:145], v[118:119], v[10:11]
	s_waitcnt vmcnt(0)
	v_mul_f64 v[146:147], v[112:113], v[6:7]
	v_mul_f64 v[148:149], v[114:115], v[6:7]
	v_fma_f64 v[150:151], v[55:56], v[21:22], -v[41:42]
	v_fma_f64 v[57:58], v[57:58], v[21:22], v[23:24]
	v_fma_f64 v[39:40], v[74:75], v[29:30], -v[120:121]
	v_fma_f64 v[14:15], v[80:81], v[33:34], v[122:123]
	v_fma_f64 v[18:19], v[78:79], v[33:34], -v[35:36]
	v_fma_f64 v[21:22], v[94:95], v[43:44], v[128:129]
	v_fma_f64 v[23:24], v[92:93], v[43:44], -v[45:46]
	v_fma_f64 v[6:7], v[61:62], v[25:26], v[86:87]
	v_fma_f64 v[10:11], v[59:60], v[25:26], -v[27:28]
	v_fma_f64 v[41:42], v[76:77], v[29:30], v[31:32]
	v_fma_f64 v[35:36], v[82:83], v[37:38], -v[124:125]
	v_fma_f64 v[33:34], v[84:85], v[37:38], v[126:127]
	v_fma_f64 v[55:56], v[104:105], v[16:17], -v[134:135]
	v_fma_f64 v[29:30], v[102:103], v[47:48], v[130:131]
	v_fma_f64 v[25:26], v[98:99], v[51:52], v[132:133]
	v_fma_f64 v[31:32], v[100:101], v[47:48], -v[49:50]
	v_fma_f64 v[27:28], v[96:97], v[51:52], -v[53:54]
	v_fma_f64 v[53:54], v[106:107], v[16:17], v[136:137]
	v_fma_f64 v[47:48], v[108:109], v[12:13], -v[138:139]
	v_fma_f64 v[45:46], v[110:111], v[12:13], v[140:141]
	v_fma_f64 v[12:13], v[118:119], v[8:9], v[142:143]
	;; [unrolled: 1-line block ×3, first 2 shown]
	v_fma_f64 v[37:38], v[112:113], v[4:5], -v[148:149]
	v_fma_f64 v[8:9], v[116:117], v[8:9], -v[144:145]
	v_add_f64 v[92:93], v[0:1], v[150:151]
	v_add_f64 v[94:95], v[2:3], v[57:58]
	v_add_f64 v[80:81], v[39:40], -v[18:19]
	v_add_f64 v[61:62], v[39:40], v[18:19]
	v_add_f64 v[96:97], v[57:58], -v[6:7]
	v_add_f64 v[98:99], v[150:151], -v[10:11]
	;; [unrolled: 1-line block ×4, first 2 shown]
	v_add_f64 v[76:77], v[57:58], v[6:7]
	v_add_f64 v[59:60], v[41:42], v[14:15]
	v_add_f64 v[57:58], v[35:36], v[23:24]
	v_add_f64 v[86:87], v[33:34], -v[21:22]
	v_add_f64 v[51:52], v[33:34], v[21:22]
	v_add_f64 v[74:75], v[150:151], v[10:11]
	;; [unrolled: 1-line block ×3, first 2 shown]
	v_add_f64 v[78:79], v[31:32], -v[27:28]
	v_add_f64 v[43:44], v[29:30], -v[25:26]
	v_add_f64 v[49:50], v[29:30], v[25:26]
	scratch_store_b64 off, v[6:7], off offset:12 ; 8-byte Folded Spill
	v_add_f64 v[104:105], v[45:46], -v[16:17]
	v_add_f64 v[106:107], v[47:48], -v[37:38]
	;; [unrolled: 1-line block ×3, first 2 shown]
	v_add_f64 v[108:109], v[55:56], v[8:9]
	v_add_f64 v[110:111], v[53:54], v[12:13]
	;; [unrolled: 1-line block ×4, first 2 shown]
	v_add_f64 v[100:101], v[53:54], -v[12:13]
	v_add_f64 v[39:40], v[92:93], v[39:40]
	v_add_f64 v[41:42], v[94:95], v[41:42]
	v_mul_f64 v[138:139], v[80:81], s[16:17]
	v_mul_f64 v[134:135], v[80:81], s[24:25]
	;; [unrolled: 1-line block ×26, first 2 shown]
	s_mov_b32 s15, 0x3fddbe06
	v_mul_f64 v[172:173], v[43:44], s[16:17]
	v_mul_f64 v[174:175], v[43:44], s[38:39]
	;; [unrolled: 1-line block ×7, first 2 shown]
	v_add_f64 v[35:36], v[39:40], v[35:36]
	v_add_f64 v[33:34], v[41:42], v[33:34]
	v_mul_f64 v[188:189], v[78:79], s[36:37]
	v_mul_f64 v[39:40], v[78:79], s[30:31]
	v_fma_f64 v[238:239], v[59:60], s[10:11], v[138:139]
	v_mul_f64 v[194:195], v[102:103], s[28:29]
	v_fma_f64 v[242:243], v[59:60], s[22:23], v[142:143]
	v_fma_f64 v[216:217], v[74:75], s[0:1], -v[92:93]
	v_fma_f64 v[222:223], v[76:77], s[12:13], v[118:119]
	v_fma_f64 v[220:221], v[74:75], s[12:13], -v[116:117]
	;; [unrolled: 2-line block ×3, first 2 shown]
	v_fma_f64 v[120:121], v[74:75], s[4:5], v[120:121]
	v_fma_f64 v[218:219], v[76:77], s[0:1], v[94:95]
	;; [unrolled: 1-line block ×3, first 2 shown]
	v_fma_f64 v[94:95], v[76:77], s[0:1], -v[94:95]
	v_fma_f64 v[226:227], v[76:77], s[4:5], v[122:123]
	v_fma_f64 v[228:229], v[74:75], s[10:11], -v[124:125]
	v_fma_f64 v[230:231], v[76:77], s[10:11], v[126:127]
	v_fma_f64 v[124:125], v[74:75], s[10:11], v[124:125]
	v_fma_f64 v[126:127], v[76:77], s[10:11], -v[126:127]
	v_fma_f64 v[232:233], v[74:75], s[18:19], -v[128:129]
	v_fma_f64 v[128:129], v[74:75], s[18:19], v[128:129]
	v_fma_f64 v[236:237], v[61:62], s[10:11], -v[136:137]
	v_fma_f64 v[136:137], v[61:62], s[10:11], v[136:137]
	;; [unrolled: 2-line block ×3, first 2 shown]
	v_fma_f64 v[6:7], v[51:52], s[22:23], v[158:159]
	v_fma_f64 v[118:119], v[76:77], s[12:13], -v[118:119]
	v_fma_f64 v[122:123], v[76:77], s[4:5], -v[122:123]
	v_fma_f64 v[234:235], v[76:77], s[22:23], v[98:99]
	v_fma_f64 v[244:245], v[61:62], s[18:19], -v[144:145]
	v_fma_f64 v[246:247], v[59:60], s[18:19], v[146:147]
	v_fma_f64 v[144:145], v[61:62], s[18:19], v[144:145]
	v_fma_f64 v[146:147], v[59:60], s[18:19], -v[146:147]
	v_fma_f64 v[250:251], v[59:60], s[4:5], v[150:151]
	v_fma_f64 v[150:151], v[59:60], s[4:5], -v[150:151]
	v_fma_f64 v[252:253], v[57:58], s[4:5], -v[152:153]
	v_add_f64 v[31:32], v[35:36], v[31:32]
	v_add_f64 v[29:30], v[33:34], v[29:30]
	v_fma_f64 v[35:36], v[76:77], s[18:19], v[130:131]
	v_fma_f64 v[130:131], v[76:77], s[18:19], -v[130:131]
	v_fma_f64 v[33:34], v[74:75], s[22:23], -v[96:97]
	v_fma_f64 v[74:75], v[74:75], s[22:23], v[96:97]
	v_fma_f64 v[96:97], v[61:62], s[12:13], -v[132:133]
	v_add_f64 v[216:217], v[0:1], v[216:217]
	v_add_f64 v[222:223], v[2:3], v[222:223]
	v_fma_f64 v[76:77], v[76:77], s[22:23], -v[98:99]
	v_add_f64 v[116:117], v[0:1], v[116:117]
	v_fma_f64 v[98:99], v[59:60], s[12:13], v[134:135]
	v_add_f64 v[120:121], v[0:1], v[120:121]
	v_fma_f64 v[134:135], v[59:60], s[12:13], -v[134:135]
	v_fma_f64 v[89:90], v[57:58], s[22:23], -v[156:157]
	v_fma_f64 v[156:157], v[57:58], s[22:23], v[156:157]
	v_fma_f64 v[71:72], v[57:58], s[10:11], -v[160:161]
	v_fma_f64 v[160:161], v[57:58], s[10:11], v[160:161]
	v_add_f64 v[218:219], v[2:3], v[218:219]
	v_add_f64 v[94:95], v[2:3], v[94:95]
	v_add_f64 v[224:225], v[0:1], v[224:225]
	v_add_f64 v[226:227], v[2:3], v[226:227]
	v_add_f64 v[228:229], v[0:1], v[228:229]
	v_add_f64 v[230:231], v[2:3], v[230:231]
	v_add_f64 v[124:125], v[0:1], v[124:125]
	v_add_f64 v[126:127], v[2:3], v[126:127]
	v_mul_f64 v[43:44], v[43:44], s[14:15]
	v_mul_f64 v[78:79], v[78:79], s[14:15]
	;; [unrolled: 1-line block ×8, first 2 shown]
	v_add_f64 v[220:221], v[0:1], v[220:221]
	v_mul_f64 v[162:163], v[84:85], s[40:41]
	v_mul_f64 v[154:155], v[84:85], s[26:27]
	;; [unrolled: 1-line block ×3, first 2 shown]
	v_add_f64 v[31:32], v[31:32], v[55:56]
	v_add_f64 v[29:30], v[29:30], v[53:54]
	v_mul_f64 v[166:167], v[84:85], s[24:25]
	v_add_f64 v[130:131], v[2:3], v[130:131]
	v_mul_f64 v[170:171], v[84:85], s[20:21]
	v_mul_f64 v[86:87], v[86:87], s[14:15]
	;; [unrolled: 1-line block ×3, first 2 shown]
	v_add_f64 v[96:97], v[96:97], v[216:217]
	v_add_f64 v[222:223], v[238:239], v[222:223]
	v_mul_f64 v[216:217], v[106:107], s[30:31]
	v_add_f64 v[116:117], v[136:137], v[116:117]
	v_mul_f64 v[238:239], v[106:107], s[28:29]
	v_add_f64 v[120:121], v[140:141], v[120:121]
	v_fma_f64 v[136:137], v[4:5], s[10:11], -v[172:173]
	v_fma_f64 v[172:173], v[4:5], s[10:11], v[172:173]
	v_fma_f64 v[140:141], v[4:5], s[22:23], -v[178:179]
	v_fma_f64 v[178:179], v[4:5], s[22:23], v[178:179]
	v_add_f64 v[232:233], v[0:1], v[232:233]
	v_add_f64 v[98:99], v[98:99], v[218:219]
	;; [unrolled: 1-line block ×3, first 2 shown]
	v_mul_f64 v[134:135], v[106:107], s[16:17]
	v_mul_f64 v[106:107], v[106:107], s[14:15]
	v_add_f64 v[224:225], v[240:241], v[224:225]
	v_fma_f64 v[240:241], v[4:5], s[18:19], -v[174:175]
	v_fma_f64 v[174:175], v[4:5], s[18:19], v[174:175]
	v_add_f64 v[226:227], v[242:243], v[226:227]
	v_fma_f64 v[242:243], v[4:5], s[4:5], -v[176:177]
	v_fma_f64 v[176:177], v[4:5], s[4:5], v[176:177]
	;; [unrolled: 3-line block ×3, first 2 shown]
	v_add_f64 v[230:231], v[246:247], v[230:231]
	v_fma_f64 v[246:247], v[49:50], s[4:5], v[186:187]
	v_fma_f64 v[186:187], v[49:50], s[4:5], -v[186:187]
	v_add_f64 v[124:125], v[144:145], v[124:125]
	v_fma_f64 v[144:145], v[49:50], s[22:23], v[188:189]
	v_fma_f64 v[188:189], v[49:50], s[22:23], -v[188:189]
	v_add_f64 v[126:127], v[146:147], v[126:127]
	v_add_f64 v[31:32], v[31:32], v[47:48]
	;; [unrolled: 1-line block ×3, first 2 shown]
	v_fma_f64 v[146:147], v[49:50], s[12:13], v[39:40]
	v_fma_f64 v[39:40], v[49:50], s[12:13], -v[39:40]
	v_add_f64 v[130:131], v[150:151], v[130:131]
	v_fma_f64 v[150:151], v[110:111], s[4:5], v[194:195]
	v_fma_f64 v[218:219], v[4:5], s[0:1], -v[43:44]
	v_fma_f64 v[4:5], v[4:5], s[0:1], v[43:44]
	v_add_f64 v[6:7], v[6:7], v[222:223]
	v_fma_f64 v[43:44], v[49:50], s[0:1], v[78:79]
	v_fma_f64 v[248:249], v[61:62], s[4:5], -v[148:149]
	v_add_f64 v[35:36], v[2:3], v[35:36]
	v_fma_f64 v[132:133], v[61:62], s[12:13], v[132:133]
	v_fma_f64 v[148:149], v[61:62], s[4:5], v[148:149]
	v_add_f64 v[92:93], v[0:1], v[92:93]
	v_add_f64 v[118:119], v[2:3], v[118:119]
	;; [unrolled: 1-line block ×8, first 2 shown]
	v_fma_f64 v[74:75], v[57:58], s[18:19], -v[168:169]
	v_fma_f64 v[76:77], v[57:58], s[18:19], v[168:169]
	v_fma_f64 v[168:169], v[61:62], s[0:1], -v[82:83]
	v_fma_f64 v[61:62], v[61:62], s[0:1], v[82:83]
	v_fma_f64 v[82:83], v[59:60], s[0:1], v[80:81]
	v_fma_f64 v[138:139], v[59:60], s[10:11], -v[138:139]
	v_fma_f64 v[142:143], v[59:60], s[22:23], -v[142:143]
	;; [unrolled: 1-line block ×3, first 2 shown]
	v_add_f64 v[220:221], v[236:237], v[220:221]
	v_fma_f64 v[55:56], v[51:52], s[10:11], v[162:163]
	v_fma_f64 v[80:81], v[57:58], s[0:1], -v[86:87]
	v_fma_f64 v[45:46], v[51:52], s[0:1], v[84:85]
	v_fma_f64 v[152:153], v[57:58], s[4:5], v[152:153]
	v_fma_f64 v[53:54], v[57:58], s[12:13], -v[164:165]
	v_fma_f64 v[164:165], v[57:58], s[12:13], v[164:165]
	v_fma_f64 v[57:58], v[57:58], s[0:1], v[86:87]
	v_add_f64 v[31:32], v[31:32], v[37:38]
	v_add_f64 v[16:17], v[29:30], v[16:17]
	v_fma_f64 v[29:30], v[49:50], s[18:19], v[184:185]
	v_fma_f64 v[37:38], v[49:50], s[10:11], v[182:183]
	v_fma_f64 v[182:183], v[49:50], s[10:11], -v[182:183]
	v_fma_f64 v[184:185], v[49:50], s[18:19], -v[184:185]
	;; [unrolled: 1-line block ×3, first 2 shown]
	v_add_f64 v[78:79], v[252:253], v[96:97]
	v_add_f64 v[96:97], v[156:157], v[116:117]
	;; [unrolled: 1-line block ×3, first 2 shown]
	v_fma_f64 v[86:87], v[51:52], s[12:13], v[166:167]
	v_add_f64 v[232:233], v[248:249], v[232:233]
	v_add_f64 v[35:36], v[250:251], v[35:36]
	v_fma_f64 v[47:48], v[51:52], s[18:19], v[170:171]
	v_fma_f64 v[170:171], v[51:52], s[18:19], -v[170:171]
	v_fma_f64 v[166:167], v[51:52], s[12:13], -v[166:167]
	v_fma_f64 v[254:255], v[51:52], s[4:5], v[154:155]
	v_add_f64 v[128:129], v[148:149], v[128:129]
	v_fma_f64 v[154:155], v[51:52], s[4:5], -v[154:155]
	v_fma_f64 v[158:159], v[51:52], s[22:23], -v[158:159]
	;; [unrolled: 1-line block ×4, first 2 shown]
	v_add_f64 v[92:93], v[132:133], v[92:93]
	v_mul_f64 v[41:42], v[100:101], s[28:29]
	v_add_f64 v[33:34], v[168:169], v[33:34]
	v_add_f64 v[0:1], v[61:62], v[0:1]
	;; [unrolled: 1-line block ×7, first 2 shown]
	v_mul_f64 v[196:197], v[100:101], s[24:25]
	v_mul_f64 v[198:199], v[102:103], s[24:25]
	v_add_f64 v[71:72], v[71:72], v[224:225]
	v_add_f64 v[55:56], v[55:56], v[226:227]
	v_mul_f64 v[200:201], v[100:101], s[36:37]
	v_mul_f64 v[202:203], v[102:103], s[36:37]
	v_add_f64 v[80:81], v[80:81], v[228:229]
	v_add_f64 v[8:9], v[31:32], v[8:9]
	;; [unrolled: 1-line block ×5, first 2 shown]
	v_mul_f64 v[190:191], v[100:101], s[20:21]
	v_mul_f64 v[192:193], v[102:103], s[20:21]
	;; [unrolled: 1-line block ×5, first 2 shown]
	v_add_f64 v[4:5], v[4:5], v[116:117]
	v_fma_f64 v[116:117], v[114:115], s[0:1], v[106:107]
	v_mul_f64 v[102:103], v[102:103], s[14:15]
	v_add_f64 v[53:54], v[53:54], v[232:233]
	v_add_f64 v[35:36], v[86:87], v[35:36]
	;; [unrolled: 1-line block ×3, first 2 shown]
	v_mul_f64 v[208:209], v[104:105], s[34:35]
	v_add_f64 v[98:99], v[254:255], v[98:99]
	v_add_f64 v[86:87], v[164:165], v[128:129]
	;; [unrolled: 1-line block ×3, first 2 shown]
	v_mul_f64 v[212:213], v[104:105], s[20:21]
	v_mul_f64 v[84:85], v[104:105], s[30:31]
	v_add_f64 v[51:52], v[51:52], v[126:127]
	v_add_f64 v[92:93], v[152:153], v[92:93]
	v_mul_f64 v[132:133], v[104:105], s[16:17]
	v_add_f64 v[33:34], v[74:75], v[33:34]
	v_add_f64 v[0:1], v[76:77], v[0:1]
	v_add_f64 v[47:48], v[47:48], v[82:83]
	v_add_f64 v[74:75], v[166:167], v[130:131]
	v_add_f64 v[76:77], v[162:163], v[122:123]
	v_add_f64 v[2:3], v[170:171], v[2:3]
	v_add_f64 v[82:83], v[158:159], v[118:119]
	v_mul_f64 v[236:237], v[104:105], s[28:29]
	v_mul_f64 v[104:105], v[104:105], s[14:15]
	v_fma_f64 v[148:149], v[108:109], s[4:5], -v[41:42]
	v_add_f64 v[89:90], v[240:241], v[89:90]
	v_fma_f64 v[41:42], v[108:109], s[4:5], v[41:42]
	v_fma_f64 v[168:169], v[108:109], s[12:13], -v[196:197]
	v_fma_f64 v[234:235], v[110:111], s[12:13], v[198:199]
	v_add_f64 v[8:9], v[8:9], v[27:28]
	v_add_f64 v[12:13], v[12:13], v[25:26]
	;; [unrolled: 1-line block ×6, first 2 shown]
	v_fma_f64 v[61:62], v[108:109], s[22:23], -v[200:201]
	v_fma_f64 v[59:60], v[110:111], s[22:23], v[202:203]
	v_add_f64 v[55:56], v[242:243], v[80:81]
	v_add_f64 v[45:46], v[246:247], v[45:46]
	v_fma_f64 v[128:129], v[108:109], s[0:1], -v[100:101]
	v_fma_f64 v[130:131], v[110:111], s[0:1], v[102:103]
	v_add_f64 v[53:54], v[140:141], v[53:54]
	v_add_f64 v[35:36], v[144:145], v[35:36]
	v_fma_f64 v[16:17], v[108:109], s[10:11], -v[204:205]
	v_fma_f64 v[31:32], v[110:111], s[10:11], v[206:207]
	v_fma_f64 v[138:139], v[108:109], s[10:11], v[204:205]
	v_fma_f64 v[142:143], v[110:111], s[10:11], -v[206:207]
	v_fma_f64 v[100:101], v[108:109], s[0:1], v[100:101]
	v_fma_f64 v[102:103], v[110:111], s[0:1], -v[102:103]
	v_add_f64 v[80:81], v[178:179], v[86:87]
	v_fma_f64 v[200:201], v[108:109], s[22:23], v[200:201]
	v_fma_f64 v[202:203], v[110:111], s[22:23], -v[202:203]
	v_add_f64 v[57:58], v[176:177], v[57:58]
	v_add_f64 v[33:34], v[244:245], v[33:34]
	;; [unrolled: 1-line block ×5, first 2 shown]
	v_fma_f64 v[196:197], v[108:109], s[12:13], v[196:197]
	v_add_f64 v[2:3], v[39:40], v[2:3]
	v_add_f64 v[39:40], v[188:189], v[74:75]
	v_fma_f64 v[198:199], v[110:111], s[12:13], -v[198:199]
	v_add_f64 v[49:50], v[49:50], v[76:77]
	v_fma_f64 v[194:195], v[110:111], s[4:5], -v[194:195]
	;; [unrolled: 2-line block ×3, first 2 shown]
	v_fma_f64 v[250:251], v[110:111], s[18:19], v[192:193]
	v_fma_f64 v[190:191], v[108:109], s[18:19], v[190:191]
	v_add_f64 v[8:9], v[8:9], v[23:24]
	v_fma_f64 v[192:193], v[110:111], s[18:19], -v[192:193]
	v_add_f64 v[92:93], v[172:173], v[92:93]
	v_add_f64 v[94:95], v[182:183], v[94:95]
	v_add_f64 v[78:79], v[136:137], v[78:79]
	v_add_f64 v[37:38], v[37:38], v[98:99]
	v_add_f64 v[12:13], v[12:13], v[21:22]
	v_fma_f64 v[21:22], v[112:113], s[0:1], -v[104:105]
	v_add_f64 v[89:90], v[148:149], v[89:90]
	v_fma_f64 v[25:26], v[112:113], s[18:19], -v[212:213]
	v_fma_f64 v[27:28], v[114:115], s[18:19], v[214:215]
	v_add_f64 v[29:30], v[41:42], v[29:30]
	v_add_f64 v[41:42], v[168:169], v[71:72]
	;; [unrolled: 1-line block ×3, first 2 shown]
	v_fma_f64 v[122:123], v[112:113], s[12:13], -v[84:85]
	v_fma_f64 v[124:125], v[114:115], s[12:13], v[216:217]
	v_add_f64 v[55:56], v[61:62], v[55:56]
	v_add_f64 v[45:46], v[59:60], v[45:46]
	v_fma_f64 v[23:24], v[112:113], s[10:11], -v[132:133]
	v_fma_f64 v[76:77], v[114:115], s[10:11], v[134:135]
	v_add_f64 v[53:54], v[128:129], v[53:54]
	v_add_f64 v[59:60], v[130:131], v[35:36]
	v_fma_f64 v[96:97], v[112:113], s[4:5], -v[236:237]
	v_fma_f64 v[98:99], v[114:115], s[4:5], v[238:239]
	v_add_f64 v[71:72], v[16:17], v[33:34]
	v_fma_f64 v[108:109], v[112:113], s[4:5], v[236:237]
	v_add_f64 v[31:32], v[31:32], v[47:48]
	v_fma_f64 v[110:111], v[114:115], s[4:5], -v[238:239]
	v_add_f64 v[47:48], v[138:139], v[0:1]
	v_add_f64 v[2:3], v[142:143], v[2:3]
	v_fma_f64 v[82:83], v[112:113], s[10:11], v[132:133]
	v_fma_f64 v[86:87], v[114:115], s[10:11], -v[134:135]
	v_add_f64 v[61:62], v[100:101], v[80:81]
	v_add_f64 v[39:40], v[102:103], v[39:40]
	v_fma_f64 v[84:85], v[112:113], s[12:13], v[84:85]
	v_fma_f64 v[126:127], v[114:115], s[12:13], -v[216:217]
	v_add_f64 v[57:58], v[200:201], v[57:58]
	v_add_f64 v[80:81], v[202:203], v[51:52]
	;; [unrolled: 1-line block ×4, first 2 shown]
	scratch_load_b64 v[6:7], off, off offset:12 ; 8-byte Folded Reload
	v_fma_f64 v[118:119], v[112:113], s[18:19], v[212:213]
	v_fma_f64 v[120:121], v[114:115], s[18:19], -v[214:215]
	v_fma_f64 v[104:105], v[112:113], s[0:1], v[104:105]
	v_add_f64 v[4:5], v[196:197], v[4:5]
	v_add_f64 v[100:101], v[198:199], v[49:50]
	v_fma_f64 v[106:107], v[114:115], s[0:1], -v[106:107]
	v_add_f64 v[74:75], v[194:195], v[74:75]
	v_fma_f64 v[204:205], v[112:113], s[22:23], -v[208:209]
	v_fma_f64 v[206:207], v[114:115], s[22:23], v[210:211]
	v_fma_f64 v[208:209], v[112:113], s[22:23], v[208:209]
	v_fma_f64 v[210:211], v[114:115], s[22:23], -v[210:211]
	v_add_f64 v[92:93], v[190:191], v[92:93]
	v_add_f64 v[94:95], v[192:193], v[94:95]
	;; [unrolled: 1-line block ×16, first 2 shown]
	s_waitcnt vmcnt(0)
	s_waitcnt_vscnt null, 0x0
	s_barrier
	v_add_f64 v[45:46], v[82:83], v[61:62]
	v_add_f64 v[47:48], v[86:87], v[39:40]
	buffer_gl0_inv
	s_add_u32 s1, s8, 0x7df0
	v_add_f64 v[37:38], v[84:85], v[57:58]
	v_add_f64 v[39:40], v[126:127], v[80:81]
	s_addc_u32 s4, s9, 0
	s_mov_b32 s5, exec_lo
	v_add_f64 v[21:22], v[104:105], v[29:30]
	v_add_f64 v[29:30], v[118:119], v[4:5]
	v_add_f64 v[31:32], v[120:121], v[100:101]
	v_add_f64 v[4:5], v[8:9], v[10:11]
	v_add_f64 v[23:24], v[106:107], v[74:75]
                                        ; implicit-def: $vgpr8_vgpr9
	v_add_f64 v[12:13], v[208:209], v[92:93]
	v_add_f64 v[14:15], v[210:211], v[94:95]
	;; [unrolled: 1-line block ×5, first 2 shown]
	ds_store_b128 v88, v[16:19] offset:4992
	ds_store_b128 v88, v[25:28] offset:7488
	;; [unrolled: 1-line block ×12, first 2 shown]
	ds_store_b128 v88, v[4:7]
	s_waitcnt lgkmcnt(0)
	s_barrier
	buffer_gl0_inv
	ds_load_b128 v[4:7], v88
	v_lshlrev_b32_e32 v0, 4, v66
                                        ; implicit-def: $vgpr2_vgpr3
	s_delay_alu instid0(VALU_DEP_1)
	v_sub_nc_u32_e32 v10, 0, v0
	v_cmpx_ne_u32_e32 0, v66
	s_xor_b32 s5, exec_lo, s5
	s_cbranch_execz .LBB0_23
; %bb.22:
	v_mov_b32_e32 v67, 0
	s_delay_alu instid0(VALU_DEP_1) | instskip(NEXT) | instid1(VALU_DEP_1)
	v_lshlrev_b64 v[0:1], 4, v[66:67]
	v_add_co_u32 v0, s0, s1, v0
	s_delay_alu instid0(VALU_DEP_1)
	v_add_co_ci_u32_e64 v1, s0, s4, v1, s0
	global_load_b128 v[11:14], v[0:1], off
	ds_load_b128 v[0:3], v10 offset:32448
	s_waitcnt lgkmcnt(0)
	v_add_f64 v[8:9], v[4:5], -v[0:1]
	v_add_f64 v[15:16], v[6:7], v[2:3]
	v_add_f64 v[2:3], v[6:7], -v[2:3]
	v_add_f64 v[0:1], v[4:5], v[0:1]
	s_delay_alu instid0(VALU_DEP_4) | instskip(NEXT) | instid1(VALU_DEP_4)
	v_mul_f64 v[6:7], v[8:9], 0.5
	v_mul_f64 v[4:5], v[15:16], 0.5
	s_delay_alu instid0(VALU_DEP_4) | instskip(SKIP_1) | instid1(VALU_DEP_3)
	v_mul_f64 v[2:3], v[2:3], 0.5
	s_waitcnt vmcnt(0)
	v_mul_f64 v[8:9], v[6:7], v[13:14]
	s_delay_alu instid0(VALU_DEP_2) | instskip(SKIP_1) | instid1(VALU_DEP_3)
	v_fma_f64 v[15:16], v[4:5], v[13:14], v[2:3]
	v_fma_f64 v[2:3], v[4:5], v[13:14], -v[2:3]
	v_fma_f64 v[17:18], v[0:1], 0.5, v[8:9]
	v_fma_f64 v[0:1], v[0:1], 0.5, -v[8:9]
	s_delay_alu instid0(VALU_DEP_4) | instskip(NEXT) | instid1(VALU_DEP_4)
	v_fma_f64 v[8:9], -v[11:12], v[6:7], v[15:16]
	v_fma_f64 v[2:3], -v[11:12], v[6:7], v[2:3]
	s_delay_alu instid0(VALU_DEP_4) | instskip(NEXT) | instid1(VALU_DEP_4)
	v_fma_f64 v[13:14], v[4:5], v[11:12], v[17:18]
	v_fma_f64 v[0:1], -v[4:5], v[11:12], v[0:1]
                                        ; implicit-def: $vgpr4_vgpr5
	ds_store_b64 v88, v[13:14]
.LBB0_23:
	s_and_not1_saveexec_b32 s0, s5
	s_cbranch_execz .LBB0_25
; %bb.24:
	s_waitcnt lgkmcnt(0)
	v_add_f64 v[11:12], v[4:5], v[6:7]
	v_add_f64 v[0:1], v[4:5], -v[6:7]
	v_mov_b32_e32 v6, 0
	v_mov_b32_e32 v8, 0
	v_mov_b32_e32 v9, 0
	s_delay_alu instid0(VALU_DEP_2)
	v_mov_b32_e32 v2, v8
	ds_load_b64 v[4:5], v6 offset:16232
	v_mov_b32_e32 v3, v9
	s_waitcnt lgkmcnt(0)
	v_xor_b32_e32 v5, 0x80000000, v5
	ds_store_b64 v88, v[11:12]
	ds_store_b64 v6, v[4:5] offset:16232
.LBB0_25:
	s_or_b32 exec_lo, exec_lo, s0
	v_mov_b32_e32 v71, 0
	s_mov_b32 s5, exec_lo
	s_waitcnt lgkmcnt(0)
	s_delay_alu instid0(VALU_DEP_1) | instskip(SKIP_2) | instid1(VALU_DEP_3)
	v_lshlrev_b64 v[4:5], 4, v[70:71]
	v_add_nc_u32_e32 v70, 0x30c, v66
	v_mov_b32_e32 v74, v71
	v_add_co_u32 v4, s0, s1, v4
	s_delay_alu instid0(VALU_DEP_1) | instskip(NEXT) | instid1(VALU_DEP_3)
	v_add_co_ci_u32_e64 v5, s0, s4, v5, s0
	v_lshlrev_b64 v[11:12], 4, v[73:74]
	global_load_b128 v[4:7], v[4:5], off
	v_add_co_u32 v11, s0, s1, v11
	s_delay_alu instid0(VALU_DEP_1)
	v_add_co_ci_u32_e64 v12, s0, s4, v12, s0
	global_load_b128 v[11:14], v[11:12], off
	ds_store_b64 v88, v[8:9] offset:8
	ds_store_b128 v10, v[0:3] offset:32448
	ds_load_b128 v[0:3], v91
	ds_load_b128 v[15:18], v10 offset:29952
	s_waitcnt lgkmcnt(0)
	v_add_f64 v[8:9], v[0:1], -v[15:16]
	v_add_f64 v[21:22], v[2:3], v[17:18]
	v_add_f64 v[2:3], v[2:3], -v[17:18]
	v_add_f64 v[0:1], v[0:1], v[15:16]
	s_delay_alu instid0(VALU_DEP_4) | instskip(NEXT) | instid1(VALU_DEP_4)
	v_mul_f64 v[8:9], v[8:9], 0.5
	v_mul_f64 v[17:18], v[21:22], 0.5
	s_delay_alu instid0(VALU_DEP_4) | instskip(SKIP_1) | instid1(VALU_DEP_3)
	v_mul_f64 v[2:3], v[2:3], 0.5
	s_waitcnt vmcnt(1)
	v_mul_f64 v[15:16], v[8:9], v[6:7]
	s_delay_alu instid0(VALU_DEP_2) | instskip(SKIP_1) | instid1(VALU_DEP_3)
	v_fma_f64 v[21:22], v[17:18], v[6:7], v[2:3]
	v_fma_f64 v[6:7], v[17:18], v[6:7], -v[2:3]
	v_fma_f64 v[23:24], v[0:1], 0.5, v[15:16]
	s_delay_alu instid0(VALU_DEP_3) | instskip(NEXT) | instid1(VALU_DEP_3)
	v_fma_f64 v[2:3], -v[4:5], v[8:9], v[21:22]
	v_fma_f64 v[6:7], -v[4:5], v[8:9], v[6:7]
	scratch_load_b64 v[8:9], off, off       ; 8-byte Folded Reload
	v_fma_f64 v[15:16], v[0:1], 0.5, -v[15:16]
	s_waitcnt vmcnt(0)
	v_mov_b32_e32 v9, v71
	v_fma_f64 v[0:1], v[17:18], v[4:5], v[23:24]
	s_delay_alu instid0(VALU_DEP_3) | instskip(NEXT) | instid1(VALU_DEP_3)
	v_fma_f64 v[4:5], -v[17:18], v[4:5], v[15:16]
	v_lshlrev_b64 v[8:9], 4, v[8:9]
	s_delay_alu instid0(VALU_DEP_1) | instskip(NEXT) | instid1(VALU_DEP_1)
	v_add_co_u32 v8, s0, s1, v8
	v_add_co_ci_u32_e64 v9, s0, s4, v9, s0
	global_load_b128 v[15:18], v[8:9], off
	ds_store_b128 v91, v[0:3]
	ds_store_b128 v10, v[4:7] offset:29952
	ds_load_b128 v[0:3], v63
	ds_load_b128 v[4:7], v10 offset:27456
	s_waitcnt lgkmcnt(0)
	v_add_f64 v[8:9], v[0:1], -v[4:5]
	v_add_f64 v[21:22], v[2:3], v[6:7]
	v_add_f64 v[2:3], v[2:3], -v[6:7]
	v_add_f64 v[0:1], v[0:1], v[4:5]
	s_delay_alu instid0(VALU_DEP_4) | instskip(NEXT) | instid1(VALU_DEP_4)
	v_mul_f64 v[6:7], v[8:9], 0.5
	v_mul_f64 v[8:9], v[21:22], 0.5
	s_delay_alu instid0(VALU_DEP_4) | instskip(NEXT) | instid1(VALU_DEP_3)
	v_mul_f64 v[2:3], v[2:3], 0.5
	v_mul_f64 v[4:5], v[6:7], v[13:14]
	s_delay_alu instid0(VALU_DEP_2) | instskip(SKIP_1) | instid1(VALU_DEP_3)
	v_fma_f64 v[21:22], v[8:9], v[13:14], v[2:3]
	v_fma_f64 v[13:14], v[8:9], v[13:14], -v[2:3]
	v_fma_f64 v[23:24], v[0:1], 0.5, v[4:5]
	v_fma_f64 v[4:5], v[0:1], 0.5, -v[4:5]
	s_delay_alu instid0(VALU_DEP_4) | instskip(NEXT) | instid1(VALU_DEP_4)
	v_fma_f64 v[2:3], -v[11:12], v[6:7], v[21:22]
	v_fma_f64 v[6:7], -v[11:12], v[6:7], v[13:14]
	v_mov_b32_e32 v21, v71
	v_fma_f64 v[0:1], v[8:9], v[11:12], v[23:24]
	v_fma_f64 v[4:5], -v[8:9], v[11:12], v[4:5]
	s_delay_alu instid0(VALU_DEP_3) | instskip(NEXT) | instid1(VALU_DEP_1)
	v_lshlrev_b64 v[8:9], 4, v[20:21]
	v_add_co_u32 v8, s0, s1, v8
	s_delay_alu instid0(VALU_DEP_1)
	v_add_co_ci_u32_e64 v9, s0, s4, v9, s0
	global_load_b128 v[11:14], v[8:9], off
	ds_store_b128 v63, v[0:3]
	ds_store_b128 v10, v[4:7] offset:27456
	scratch_load_b32 v63, off, off offset:8 ; 4-byte Folded Reload
	s_waitcnt vmcnt(0)
	ds_load_b128 v[0:3], v63
	ds_load_b128 v[4:7], v10 offset:24960
	s_waitcnt lgkmcnt(0)
	v_add_f64 v[8:9], v[0:1], -v[4:5]
	v_add_f64 v[19:20], v[2:3], v[6:7]
	v_add_f64 v[2:3], v[2:3], -v[6:7]
	v_add_f64 v[0:1], v[0:1], v[4:5]
	s_delay_alu instid0(VALU_DEP_4) | instskip(NEXT) | instid1(VALU_DEP_4)
	v_mul_f64 v[6:7], v[8:9], 0.5
	v_mul_f64 v[8:9], v[19:20], 0.5
	s_delay_alu instid0(VALU_DEP_4) | instskip(NEXT) | instid1(VALU_DEP_3)
	v_mul_f64 v[2:3], v[2:3], 0.5
	v_mul_f64 v[4:5], v[6:7], v[17:18]
	s_delay_alu instid0(VALU_DEP_2) | instskip(SKIP_1) | instid1(VALU_DEP_3)
	v_fma_f64 v[19:20], v[8:9], v[17:18], v[2:3]
	v_fma_f64 v[17:18], v[8:9], v[17:18], -v[2:3]
	v_fma_f64 v[21:22], v[0:1], 0.5, v[4:5]
	v_fma_f64 v[4:5], v[0:1], 0.5, -v[4:5]
	s_delay_alu instid0(VALU_DEP_4) | instskip(NEXT) | instid1(VALU_DEP_4)
	v_fma_f64 v[2:3], -v[15:16], v[6:7], v[19:20]
	v_fma_f64 v[6:7], -v[15:16], v[6:7], v[17:18]
	s_delay_alu instid0(VALU_DEP_4) | instskip(NEXT) | instid1(VALU_DEP_4)
	v_fma_f64 v[0:1], v[8:9], v[15:16], v[21:22]
	v_fma_f64 v[4:5], -v[8:9], v[15:16], v[4:5]
	v_lshlrev_b64 v[8:9], 4, v[70:71]
	s_delay_alu instid0(VALU_DEP_1) | instskip(NEXT) | instid1(VALU_DEP_1)
	v_add_co_u32 v8, s0, s1, v8
	v_add_co_ci_u32_e64 v9, s0, s4, v9, s0
	global_load_b128 v[15:18], v[8:9], off
	ds_store_b128 v63, v[0:3]
	ds_store_b128 v10, v[4:7] offset:24960
	ds_load_b128 v[0:3], v88 offset:9984
	ds_load_b128 v[4:7], v10 offset:22464
	s_waitcnt lgkmcnt(0)
	v_add_f64 v[8:9], v[0:1], -v[4:5]
	v_add_f64 v[19:20], v[2:3], v[6:7]
	v_add_f64 v[2:3], v[2:3], -v[6:7]
	v_add_f64 v[0:1], v[0:1], v[4:5]
	s_delay_alu instid0(VALU_DEP_4) | instskip(NEXT) | instid1(VALU_DEP_4)
	v_mul_f64 v[6:7], v[8:9], 0.5
	v_mul_f64 v[8:9], v[19:20], 0.5
	s_delay_alu instid0(VALU_DEP_4) | instskip(NEXT) | instid1(VALU_DEP_3)
	v_mul_f64 v[2:3], v[2:3], 0.5
	v_mul_f64 v[4:5], v[6:7], v[13:14]
	s_delay_alu instid0(VALU_DEP_2) | instskip(SKIP_1) | instid1(VALU_DEP_3)
	v_fma_f64 v[19:20], v[8:9], v[13:14], v[2:3]
	v_fma_f64 v[13:14], v[8:9], v[13:14], -v[2:3]
	v_fma_f64 v[21:22], v[0:1], 0.5, v[4:5]
	v_fma_f64 v[4:5], v[0:1], 0.5, -v[4:5]
	s_delay_alu instid0(VALU_DEP_4) | instskip(NEXT) | instid1(VALU_DEP_4)
	v_fma_f64 v[2:3], -v[11:12], v[6:7], v[19:20]
	v_fma_f64 v[6:7], -v[11:12], v[6:7], v[13:14]
	s_delay_alu instid0(VALU_DEP_4) | instskip(NEXT) | instid1(VALU_DEP_4)
	v_fma_f64 v[0:1], v[8:9], v[11:12], v[21:22]
	v_fma_f64 v[4:5], -v[8:9], v[11:12], v[4:5]
	ds_store_b128 v88, v[0:3] offset:9984
	ds_store_b128 v10, v[4:7] offset:22464
	ds_load_b128 v[0:3], v88 offset:12480
	ds_load_b128 v[4:7], v10 offset:19968
	s_waitcnt lgkmcnt(0)
	v_add_f64 v[8:9], v[0:1], -v[4:5]
	v_add_f64 v[11:12], v[2:3], v[6:7]
	v_add_f64 v[2:3], v[2:3], -v[6:7]
	v_add_f64 v[0:1], v[0:1], v[4:5]
	s_delay_alu instid0(VALU_DEP_4) | instskip(NEXT) | instid1(VALU_DEP_4)
	v_mul_f64 v[6:7], v[8:9], 0.5
	v_mul_f64 v[8:9], v[11:12], 0.5
	s_delay_alu instid0(VALU_DEP_4) | instskip(SKIP_1) | instid1(VALU_DEP_3)
	v_mul_f64 v[2:3], v[2:3], 0.5
	s_waitcnt vmcnt(0)
	v_mul_f64 v[4:5], v[6:7], v[17:18]
	s_delay_alu instid0(VALU_DEP_2) | instskip(SKIP_1) | instid1(VALU_DEP_3)
	v_fma_f64 v[11:12], v[8:9], v[17:18], v[2:3]
	v_fma_f64 v[13:14], v[8:9], v[17:18], -v[2:3]
	v_fma_f64 v[17:18], v[0:1], 0.5, v[4:5]
	v_fma_f64 v[4:5], v[0:1], 0.5, -v[4:5]
	s_delay_alu instid0(VALU_DEP_4) | instskip(NEXT) | instid1(VALU_DEP_4)
	v_fma_f64 v[2:3], -v[15:16], v[6:7], v[11:12]
	v_fma_f64 v[6:7], -v[15:16], v[6:7], v[13:14]
	s_delay_alu instid0(VALU_DEP_4) | instskip(NEXT) | instid1(VALU_DEP_4)
	v_fma_f64 v[0:1], v[8:9], v[15:16], v[17:18]
	v_fma_f64 v[4:5], -v[8:9], v[15:16], v[4:5]
	ds_store_b128 v88, v[0:3] offset:12480
	ds_store_b128 v10, v[4:7] offset:19968
	v_cmpx_gt_u32_e32 0x4e, v66
	s_cbranch_execz .LBB0_27
; %bb.26:
	v_add_nc_u32_e32 v70, 0x3a8, v66
	s_delay_alu instid0(VALU_DEP_1) | instskip(NEXT) | instid1(VALU_DEP_1)
	v_lshlrev_b64 v[0:1], 4, v[70:71]
	v_add_co_u32 v0, s0, s1, v0
	s_delay_alu instid0(VALU_DEP_1)
	v_add_co_ci_u32_e64 v1, s0, s4, v1, s0
	global_load_b128 v[0:3], v[0:1], off
	ds_load_b128 v[4:7], v88 offset:14976
	ds_load_b128 v[11:14], v10 offset:17472
	s_waitcnt lgkmcnt(0)
	v_add_f64 v[8:9], v[4:5], -v[11:12]
	v_add_f64 v[15:16], v[6:7], v[13:14]
	v_add_f64 v[6:7], v[6:7], -v[13:14]
	v_add_f64 v[4:5], v[4:5], v[11:12]
	s_delay_alu instid0(VALU_DEP_4) | instskip(NEXT) | instid1(VALU_DEP_4)
	v_mul_f64 v[8:9], v[8:9], 0.5
	v_mul_f64 v[13:14], v[15:16], 0.5
	s_delay_alu instid0(VALU_DEP_4) | instskip(SKIP_1) | instid1(VALU_DEP_3)
	v_mul_f64 v[6:7], v[6:7], 0.5
	s_waitcnt vmcnt(0)
	v_mul_f64 v[11:12], v[8:9], v[2:3]
	s_delay_alu instid0(VALU_DEP_2) | instskip(SKIP_1) | instid1(VALU_DEP_3)
	v_fma_f64 v[15:16], v[13:14], v[2:3], v[6:7]
	v_fma_f64 v[2:3], v[13:14], v[2:3], -v[6:7]
	v_fma_f64 v[6:7], v[4:5], 0.5, v[11:12]
	v_fma_f64 v[11:12], v[4:5], 0.5, -v[11:12]
	s_delay_alu instid0(VALU_DEP_4) | instskip(NEXT) | instid1(VALU_DEP_4)
	v_fma_f64 v[4:5], -v[0:1], v[8:9], v[15:16]
	v_fma_f64 v[8:9], -v[0:1], v[8:9], v[2:3]
	s_delay_alu instid0(VALU_DEP_4) | instskip(NEXT) | instid1(VALU_DEP_4)
	v_fma_f64 v[2:3], v[13:14], v[0:1], v[6:7]
	v_fma_f64 v[6:7], -v[13:14], v[0:1], v[11:12]
	ds_store_b128 v88, v[2:5] offset:14976
	ds_store_b128 v10, v[6:9] offset:17472
.LBB0_27:
	s_or_b32 exec_lo, exec_lo, s5
	s_waitcnt lgkmcnt(0)
	s_barrier
	buffer_gl0_inv
	s_and_saveexec_b32 s0, vcc_lo
	s_cbranch_execz .LBB0_30
; %bb.28:
	v_mul_lo_u32 v2, s3, v68
	v_mul_lo_u32 v3, s2, v69
	v_mad_u64_u32 v[0:1], null, s2, v68, 0
	v_dual_mov_b32 v67, 0 :: v_dual_add_nc_u32 v12, 0x9c, v66
	v_lshlrev_b64 v[10:11], 4, v[64:65]
	v_lshl_add_u32 v31, v66, 4, 0
	s_delay_alu instid0(VALU_DEP_3)
	v_dual_mov_b32 v13, v67 :: v_dual_add_nc_u32 v14, 0x138, v66
	v_add3_u32 v1, v1, v3, v2
	v_lshlrev_b64 v[16:17], 4, v[66:67]
	v_dual_mov_b32 v15, v67 :: v_dual_add_nc_u32 v24, 0x1d4, v66
	ds_load_b128 v[2:5], v31
	ds_load_b128 v[6:9], v31 offset:2496
	v_lshlrev_b64 v[0:1], 4, v[0:1]
	v_lshlrev_b64 v[18:19], 4, v[12:13]
	;; [unrolled: 1-line block ×3, first 2 shown]
	v_dual_mov_b32 v25, v67 :: v_dual_add_nc_u32 v26, 0x270, v66
	v_mov_b32_e32 v27, v67
	v_add_co_u32 v0, vcc_lo, s6, v0
	v_add_co_ci_u32_e32 v1, vcc_lo, s7, v1, vcc_lo
	s_delay_alu instid0(VALU_DEP_4) | instskip(NEXT) | instid1(VALU_DEP_3)
	v_lshlrev_b64 v[24:25], 4, v[24:25]
	v_add_co_u32 v0, vcc_lo, v0, v10
	s_delay_alu instid0(VALU_DEP_3) | instskip(SKIP_1) | instid1(VALU_DEP_3)
	v_add_co_ci_u32_e32 v1, vcc_lo, v1, v11, vcc_lo
	v_add_nc_u32_e32 v30, 0x750, v66
	v_add_co_u32 v22, vcc_lo, v0, v16
	s_delay_alu instid0(VALU_DEP_3)
	v_add_co_ci_u32_e32 v23, vcc_lo, v1, v17, vcc_lo
	ds_load_b128 v[10:13], v31 offset:4992
	ds_load_b128 v[14:17], v31 offset:7488
	v_add_co_u32 v18, vcc_lo, v0, v18
	v_add_co_ci_u32_e32 v19, vcc_lo, v1, v19, vcc_lo
	v_add_co_u32 v20, vcc_lo, v0, v20
	v_add_co_ci_u32_e32 v21, vcc_lo, v1, v21, vcc_lo
	;; [unrolled: 2-line block ×3, first 2 shown]
	s_waitcnt lgkmcnt(3)
	global_store_b128 v[22:23], v[2:5], off
	s_waitcnt lgkmcnt(2)
	global_store_b128 v[18:19], v[6:9], off
	s_waitcnt lgkmcnt(1)
	global_store_b128 v[20:21], v[10:13], off
	s_waitcnt lgkmcnt(0)
	global_store_b128 v[24:25], v[14:17], off
	v_add_nc_u32_e32 v10, 0x30c, v66
	v_lshlrev_b64 v[2:3], 4, v[26:27]
	v_dual_mov_b32 v11, v67 :: v_dual_add_nc_u32 v12, 0x3a8, v66
	v_dual_mov_b32 v13, v67 :: v_dual_add_nc_u32 v24, 0x444, v66
	;; [unrolled: 1-line block ×3, first 2 shown]
	s_delay_alu instid0(VALU_DEP_4)
	v_add_co_u32 v18, vcc_lo, v0, v2
	v_add_co_ci_u32_e32 v19, vcc_lo, v1, v3, vcc_lo
	ds_load_b128 v[2:5], v31 offset:9984
	ds_load_b128 v[6:9], v31 offset:12480
	v_lshlrev_b64 v[20:21], 4, v[10:11]
	v_lshlrev_b64 v[22:23], 4, v[12:13]
	ds_load_b128 v[10:13], v31 offset:14976
	ds_load_b128 v[14:17], v31 offset:17472
	v_lshlrev_b64 v[24:25], 4, v[24:25]
	v_add_co_u32 v20, vcc_lo, v0, v20
	v_add_co_ci_u32_e32 v21, vcc_lo, v1, v21, vcc_lo
	v_add_co_u32 v22, vcc_lo, v0, v22
	v_add_co_ci_u32_e32 v23, vcc_lo, v1, v23, vcc_lo
	;; [unrolled: 2-line block ×3, first 2 shown]
	s_waitcnt lgkmcnt(3)
	global_store_b128 v[18:19], v[2:5], off
	s_waitcnt lgkmcnt(2)
	global_store_b128 v[20:21], v[6:9], off
	;; [unrolled: 2-line block ×4, first 2 shown]
	v_dual_mov_b32 v11, v67 :: v_dual_add_nc_u32 v10, 0x57c, v66
	v_lshlrev_b64 v[2:3], 4, v[26:27]
	v_dual_mov_b32 v13, v67 :: v_dual_add_nc_u32 v12, 0x618, v66
	v_dual_mov_b32 v19, v67 :: v_dual_add_nc_u32 v18, 0x6b4, v66
	s_delay_alu instid0(VALU_DEP_4) | instskip(NEXT) | instid1(VALU_DEP_4)
	v_lshlrev_b64 v[10:11], 4, v[10:11]
	v_add_co_u32 v22, vcc_lo, v0, v2
	v_add_co_ci_u32_e32 v23, vcc_lo, v1, v3, vcc_lo
	ds_load_b128 v[2:5], v31 offset:19968
	ds_load_b128 v[6:9], v31 offset:22464
	v_add_co_u32 v24, vcc_lo, v0, v10
	v_add_co_ci_u32_e32 v25, vcc_lo, v1, v11, vcc_lo
	v_lshlrev_b64 v[26:27], 4, v[12:13]
	ds_load_b128 v[10:13], v31 offset:24960
	ds_load_b128 v[14:17], v31 offset:27456
	v_lshlrev_b64 v[28:29], 4, v[18:19]
	ds_load_b128 v[18:21], v31 offset:29952
	v_mov_b32_e32 v31, v67
	v_add_co_u32 v26, vcc_lo, v0, v26
	v_add_co_ci_u32_e32 v27, vcc_lo, v1, v27, vcc_lo
	s_delay_alu instid0(VALU_DEP_3) | instskip(SKIP_2) | instid1(VALU_DEP_3)
	v_lshlrev_b64 v[30:31], 4, v[30:31]
	v_add_co_u32 v28, vcc_lo, v0, v28
	v_add_co_ci_u32_e32 v29, vcc_lo, v1, v29, vcc_lo
	v_add_co_u32 v30, vcc_lo, v0, v30
	s_delay_alu instid0(VALU_DEP_4)
	v_add_co_ci_u32_e32 v31, vcc_lo, v1, v31, vcc_lo
	v_cmp_eq_u32_e32 vcc_lo, 0x9b, v66
	s_waitcnt lgkmcnt(4)
	global_store_b128 v[22:23], v[2:5], off
	s_waitcnt lgkmcnt(3)
	global_store_b128 v[24:25], v[6:9], off
	;; [unrolled: 2-line block ×5, first 2 shown]
	s_and_b32 exec_lo, exec_lo, vcc_lo
	s_cbranch_execz .LBB0_30
; %bb.29:
	ds_load_b128 v[2:5], v67 offset:32448
	v_add_co_u32 v0, vcc_lo, 0x7000, v0
	v_add_co_ci_u32_e32 v1, vcc_lo, 0, v1, vcc_lo
	s_waitcnt lgkmcnt(0)
	global_store_b128 v[0:1], v[2:5], off offset:3776
.LBB0_30:
	s_nop 0
	s_sendmsg sendmsg(MSG_DEALLOC_VGPRS)
	s_endpgm
	.section	.rodata,"a",@progbits
	.p2align	6, 0x0
	.amdhsa_kernel fft_rtc_fwd_len2028_factors_13_4_3_13_wgs_156_tpt_156_dp_op_CI_CI_unitstride_sbrr_R2C_dirReg
		.amdhsa_group_segment_fixed_size 0
		.amdhsa_private_segment_fixed_size 24
		.amdhsa_kernarg_size 104
		.amdhsa_user_sgpr_count 15
		.amdhsa_user_sgpr_dispatch_ptr 0
		.amdhsa_user_sgpr_queue_ptr 0
		.amdhsa_user_sgpr_kernarg_segment_ptr 1
		.amdhsa_user_sgpr_dispatch_id 0
		.amdhsa_user_sgpr_private_segment_size 0
		.amdhsa_wavefront_size32 1
		.amdhsa_uses_dynamic_stack 0
		.amdhsa_enable_private_segment 1
		.amdhsa_system_sgpr_workgroup_id_x 1
		.amdhsa_system_sgpr_workgroup_id_y 0
		.amdhsa_system_sgpr_workgroup_id_z 0
		.amdhsa_system_sgpr_workgroup_info 0
		.amdhsa_system_vgpr_workitem_id 0
		.amdhsa_next_free_vgpr 256
		.amdhsa_next_free_sgpr 42
		.amdhsa_reserve_vcc 1
		.amdhsa_float_round_mode_32 0
		.amdhsa_float_round_mode_16_64 0
		.amdhsa_float_denorm_mode_32 3
		.amdhsa_float_denorm_mode_16_64 3
		.amdhsa_dx10_clamp 1
		.amdhsa_ieee_mode 1
		.amdhsa_fp16_overflow 0
		.amdhsa_workgroup_processor_mode 1
		.amdhsa_memory_ordered 1
		.amdhsa_forward_progress 0
		.amdhsa_shared_vgpr_count 0
		.amdhsa_exception_fp_ieee_invalid_op 0
		.amdhsa_exception_fp_denorm_src 0
		.amdhsa_exception_fp_ieee_div_zero 0
		.amdhsa_exception_fp_ieee_overflow 0
		.amdhsa_exception_fp_ieee_underflow 0
		.amdhsa_exception_fp_ieee_inexact 0
		.amdhsa_exception_int_div_zero 0
	.end_amdhsa_kernel
	.text
.Lfunc_end0:
	.size	fft_rtc_fwd_len2028_factors_13_4_3_13_wgs_156_tpt_156_dp_op_CI_CI_unitstride_sbrr_R2C_dirReg, .Lfunc_end0-fft_rtc_fwd_len2028_factors_13_4_3_13_wgs_156_tpt_156_dp_op_CI_CI_unitstride_sbrr_R2C_dirReg
                                        ; -- End function
	.section	.AMDGPU.csdata,"",@progbits
; Kernel info:
; codeLenInByte = 16236
; NumSgprs: 44
; NumVgprs: 256
; ScratchSize: 24
; MemoryBound: 0
; FloatMode: 240
; IeeeMode: 1
; LDSByteSize: 0 bytes/workgroup (compile time only)
; SGPRBlocks: 5
; VGPRBlocks: 31
; NumSGPRsForWavesPerEU: 44
; NumVGPRsForWavesPerEU: 256
; Occupancy: 5
; WaveLimiterHint : 1
; COMPUTE_PGM_RSRC2:SCRATCH_EN: 1
; COMPUTE_PGM_RSRC2:USER_SGPR: 15
; COMPUTE_PGM_RSRC2:TRAP_HANDLER: 0
; COMPUTE_PGM_RSRC2:TGID_X_EN: 1
; COMPUTE_PGM_RSRC2:TGID_Y_EN: 0
; COMPUTE_PGM_RSRC2:TGID_Z_EN: 0
; COMPUTE_PGM_RSRC2:TIDIG_COMP_CNT: 0
	.text
	.p2alignl 7, 3214868480
	.fill 96, 4, 3214868480
	.type	__hip_cuid_4ff2daa239361233,@object ; @__hip_cuid_4ff2daa239361233
	.section	.bss,"aw",@nobits
	.globl	__hip_cuid_4ff2daa239361233
__hip_cuid_4ff2daa239361233:
	.byte	0                               ; 0x0
	.size	__hip_cuid_4ff2daa239361233, 1

	.ident	"AMD clang version 19.0.0git (https://github.com/RadeonOpenCompute/llvm-project roc-6.4.0 25133 c7fe45cf4b819c5991fe208aaa96edf142730f1d)"
	.section	".note.GNU-stack","",@progbits
	.addrsig
	.addrsig_sym __hip_cuid_4ff2daa239361233
	.amdgpu_metadata
---
amdhsa.kernels:
  - .args:
      - .actual_access:  read_only
        .address_space:  global
        .offset:         0
        .size:           8
        .value_kind:     global_buffer
      - .offset:         8
        .size:           8
        .value_kind:     by_value
      - .actual_access:  read_only
        .address_space:  global
        .offset:         16
        .size:           8
        .value_kind:     global_buffer
      - .actual_access:  read_only
        .address_space:  global
        .offset:         24
        .size:           8
        .value_kind:     global_buffer
      - .actual_access:  read_only
        .address_space:  global
        .offset:         32
        .size:           8
        .value_kind:     global_buffer
      - .offset:         40
        .size:           8
        .value_kind:     by_value
      - .actual_access:  read_only
        .address_space:  global
        .offset:         48
        .size:           8
        .value_kind:     global_buffer
      - .actual_access:  read_only
        .address_space:  global
        .offset:         56
        .size:           8
        .value_kind:     global_buffer
      - .offset:         64
        .size:           4
        .value_kind:     by_value
      - .actual_access:  read_only
        .address_space:  global
        .offset:         72
        .size:           8
        .value_kind:     global_buffer
      - .actual_access:  read_only
        .address_space:  global
        .offset:         80
        .size:           8
        .value_kind:     global_buffer
      - .actual_access:  read_only
        .address_space:  global
        .offset:         88
        .size:           8
        .value_kind:     global_buffer
      - .actual_access:  write_only
        .address_space:  global
        .offset:         96
        .size:           8
        .value_kind:     global_buffer
    .group_segment_fixed_size: 0
    .kernarg_segment_align: 8
    .kernarg_segment_size: 104
    .language:       OpenCL C
    .language_version:
      - 2
      - 0
    .max_flat_workgroup_size: 156
    .name:           fft_rtc_fwd_len2028_factors_13_4_3_13_wgs_156_tpt_156_dp_op_CI_CI_unitstride_sbrr_R2C_dirReg
    .private_segment_fixed_size: 24
    .sgpr_count:     44
    .sgpr_spill_count: 0
    .symbol:         fft_rtc_fwd_len2028_factors_13_4_3_13_wgs_156_tpt_156_dp_op_CI_CI_unitstride_sbrr_R2C_dirReg.kd
    .uniform_work_group_size: 1
    .uses_dynamic_stack: false
    .vgpr_count:     256
    .vgpr_spill_count: 9
    .wavefront_size: 32
    .workgroup_processor_mode: 1
amdhsa.target:   amdgcn-amd-amdhsa--gfx1100
amdhsa.version:
  - 1
  - 2
...

	.end_amdgpu_metadata
